;; amdgpu-corpus repo=ROCm/rocFFT kind=compiled arch=gfx1030 opt=O3
	.text
	.amdgcn_target "amdgcn-amd-amdhsa--gfx1030"
	.amdhsa_code_object_version 6
	.protected	bluestein_single_fwd_len1372_dim1_dp_op_CI_CI ; -- Begin function bluestein_single_fwd_len1372_dim1_dp_op_CI_CI
	.globl	bluestein_single_fwd_len1372_dim1_dp_op_CI_CI
	.p2align	8
	.type	bluestein_single_fwd_len1372_dim1_dp_op_CI_CI,@function
bluestein_single_fwd_len1372_dim1_dp_op_CI_CI: ; @bluestein_single_fwd_len1372_dim1_dp_op_CI_CI
; %bb.0:
	s_load_dwordx4 s[12:15], s[4:5], 0x28
	v_mul_u32_u24_e32 v1, 0x29d, v0
	s_mov_b64 s[38:39], s[2:3]
	s_mov_b64 s[36:37], s[0:1]
	v_mov_b32_e32 v3, 0
	s_add_u32 s36, s36, s7
	v_lshrrev_b32_e32 v56, 16, v1
	s_addc_u32 s37, s37, 0
	s_mov_b32 s0, exec_lo
	v_lshl_add_u32 v2, s6, 1, v56
	s_waitcnt lgkmcnt(0)
	v_cmpx_gt_u64_e64 s[12:13], v[2:3]
	s_cbranch_execz .LBB0_2
; %bb.1:
	s_clause 0x1
	s_load_dwordx4 s[0:3], s[4:5], 0x18
	s_load_dwordx4 s[8:11], s[4:5], 0x0
	v_mov_b32_e32 v4, v2
	v_mul_lo_u16 v1, 0x62, v56
	s_mov_b32 s21, 0xbfe11646
	s_mov_b32 s20, 0xe976ee23
	;; [unrolled: 1-line block ×4, first 2 shown]
	v_sub_nc_u16 v62, v0, v1
	s_mov_b32 s25, 0x3fe948f6
	s_mov_b32 s28, 0xb247c609
	;; [unrolled: 1-line block ×4, first 2 shown]
	v_and_b32_e32 v241, 0xffff, v62
	s_mov_b32 s23, 0xbfd5d0dc
	s_mov_b32 s22, s28
	v_lshlrev_b32_e32 v10, 4, v241
	v_add_co_u32 v124, null, 0x62, v241
	s_waitcnt lgkmcnt(0)
	s_load_dwordx4 s[16:19], s[0:1], 0x0
	buffer_store_dword v4, off, s[36:39], 0 ; 4-byte Folded Spill
	buffer_store_dword v5, off, s[36:39], 0 offset:4 ; 4-byte Folded Spill
	v_add_co_u32 v245, s0, s8, v10
	v_add_co_ci_u32_e64 v246, null, s9, 0, s0
	s_waitcnt lgkmcnt(0)
	v_mad_u64_u32 v[0:1], null, s18, v2, 0
	v_mad_u64_u32 v[2:3], null, s16, v241, 0
	s_mul_i32 s0, s17, 0x2ae0
	s_mul_hi_u32 s6, s16, 0x2ae0
	s_mul_i32 s1, s16, 0x2ae0
	s_add_i32 s0, s6, s0
	s_mul_hi_u32 s7, s16, 0xffffdb40
	s_mul_i32 s12, s17, 0xffffdb40
	s_mul_i32 s6, s16, 0xffffdb40
	s_sub_i32 s7, s7, s16
	s_add_i32 s7, s7, s12
	s_mov_b32 s12, 0x37c3f68c
	v_mad_u64_u32 v[4:5], null, s19, v4, v[1:2]
	s_mov_b32 s18, 0x5476071b
	s_mov_b32 s19, 0x3fe77f67
	;; [unrolled: 1-line block ×3, first 2 shown]
	v_mov_b32_e32 v1, v4
	v_mad_u64_u32 v[5:6], null, s17, v241, v[3:4]
	s_mov_b32 s16, 0x429ad128
	s_mov_b32 s17, 0xbfebfeb5
	v_lshlrev_b64 v[0:1], 4, v[0:1]
	v_mov_b32_e32 v3, v5
	v_add_co_u32 v4, vcc_lo, s14, v0
	v_add_co_ci_u32_e32 v5, vcc_lo, s15, v1, vcc_lo
	v_add_co_u32 v0, vcc_lo, 0x2800, v245
	v_add_co_ci_u32_e32 v1, vcc_lo, 0, v246, vcc_lo
	s_clause 0x1
	global_load_dwordx4 v[32:35], v10, s[8:9]
	global_load_dwordx4 v[11:14], v[0:1], off offset:736
	v_lshlrev_b64 v[2:3], 4, v[2:3]
	s_mov_b32 s15, 0x3febfeb5
	s_mov_b32 s14, s16
	v_add_co_u32 v2, vcc_lo, v4, v2
	v_add_co_ci_u32_e32 v3, vcc_lo, v5, v3, vcc_lo
	v_add_co_u32 v0, vcc_lo, v2, s1
	v_add_co_ci_u32_e32 v1, vcc_lo, s0, v3, vcc_lo
	s_clause 0x1
	global_load_dwordx4 v[16:19], v[2:3], off
	global_load_dwordx4 v[28:31], v[0:1], off
	v_add_co_u32 v0, vcc_lo, v0, s6
	v_add_co_ci_u32_e32 v1, vcc_lo, s7, v1, vcc_lo
	v_add_co_u32 v2, vcc_lo, 0x3000, v245
	v_add_co_ci_u32_e32 v3, vcc_lo, 0, v246, vcc_lo
	global_load_dwordx4 v[20:23], v10, s[8:9] offset:1568
	global_load_dwordx4 v[36:39], v[0:1], off
	v_add_co_u32 v0, vcc_lo, v0, s1
	v_add_co_ci_u32_e32 v1, vcc_lo, s0, v1, vcc_lo
	v_add_co_u32 v4, vcc_lo, 0x800, v245
	v_add_co_ci_u32_e32 v5, vcc_lo, 0, v246, vcc_lo
	global_load_dwordx4 v[24:27], v[2:3], off offset:256
	global_load_dwordx4 v[40:43], v[0:1], off
	v_add_co_u32 v0, vcc_lo, v0, s6
	v_add_co_ci_u32_e32 v1, vcc_lo, s7, v1, vcc_lo
	global_load_dwordx4 v[71:74], v[4:5], off offset:1088
	global_load_dwordx4 v[44:47], v[0:1], off
	;; [unrolled: 4-line block ×3, first 2 shown]
	v_add_co_u32 v2, vcc_lo, 0x1000, v245
	v_add_co_ci_u32_e32 v3, vcc_lo, 0, v246, vcc_lo
	v_add_co_u32 v0, vcc_lo, v0, s6
	v_add_co_ci_u32_e32 v1, vcc_lo, s7, v1, vcc_lo
	global_load_dwordx4 v[79:82], v[2:3], off offset:608
	global_load_dwordx4 v[52:55], v[0:1], off
	s_mov_b32 s8, 0x36b3c0b5
	s_mov_b32 s9, 0x3fac98ee
	s_waitcnt vmcnt(13)
	buffer_store_dword v32, off, s[36:39], 0 offset:216 ; 4-byte Folded Spill
	buffer_store_dword v33, off, s[36:39], 0 offset:220 ; 4-byte Folded Spill
	buffer_store_dword v34, off, s[36:39], 0 offset:224 ; 4-byte Folded Spill
	buffer_store_dword v35, off, s[36:39], 0 offset:228 ; 4-byte Folded Spill
	s_waitcnt vmcnt(12)
	buffer_store_dword v11, off, s[36:39], 0 offset:88 ; 4-byte Folded Spill
	buffer_store_dword v12, off, s[36:39], 0 offset:92 ; 4-byte Folded Spill
	buffer_store_dword v13, off, s[36:39], 0 offset:96 ; 4-byte Folded Spill
	buffer_store_dword v14, off, s[36:39], 0 offset:100 ; 4-byte Folded Spill
	;; [unrolled: 5-line block ×4, first 2 shown]
	v_mul_f64 v[2:3], v[18:19], v[34:35]
	v_mul_f64 v[6:7], v[30:31], v[13:14]
	v_mul_f64 v[8:9], v[28:29], v[13:14]
	v_mul_f64 v[4:5], v[16:17], v[34:35]
	v_fma_f64 v[57:58], v[16:17], v[32:33], v[2:3]
	v_fma_f64 v[63:64], v[28:29], v[11:12], v[6:7]
	v_fma_f64 v[65:66], v[30:31], v[11:12], -v[8:9]
	s_waitcnt vmcnt(5)
	v_mov_b32_e32 v11, v71
	v_fma_f64 v[59:60], v[18:19], v[32:33], -v[4:5]
	v_mov_b32_e32 v12, v72
	v_mov_b32_e32 v13, v73
	;; [unrolled: 1-line block ×3, first 2 shown]
	s_waitcnt vmcnt(3)
	v_mov_b32_e32 v15, v75
	v_mov_b32_e32 v16, v76
	;; [unrolled: 1-line block ×4, first 2 shown]
	buffer_store_dword v11, off, s[36:39], 0 offset:40 ; 4-byte Folded Spill
	buffer_store_dword v12, off, s[36:39], 0 offset:44 ; 4-byte Folded Spill
	;; [unrolled: 1-line block ×8, first 2 shown]
	v_mul_f64 v[2:3], v[38:39], v[22:23]
	v_mul_f64 v[4:5], v[36:37], v[22:23]
	;; [unrolled: 1-line block ×4, first 2 shown]
	v_and_b32_e32 v28, 3, v124
	v_lshrrev_b32_e32 v29, 2, v241
	v_mul_u32_u24_e32 v29, 28, v29
	v_fma_f64 v[67:68], v[36:37], v[20:21], v[2:3]
	v_fma_f64 v[69:70], v[38:39], v[20:21], -v[4:5]
	v_fma_f64 v[71:72], v[40:41], v[24:25], v[6:7]
	v_fma_f64 v[73:74], v[42:43], v[24:25], -v[8:9]
	v_mul_f64 v[2:3], v[46:47], v[13:14]
	v_mul_f64 v[4:5], v[44:45], v[13:14]
	s_waitcnt vmcnt(2)
	v_mul_f64 v[6:7], v[50:51], v[17:18]
	v_mul_f64 v[8:9], v[48:49], v[17:18]
	v_fma_f64 v[75:76], v[44:45], v[11:12], v[2:3]
	v_fma_f64 v[77:78], v[46:47], v[11:12], -v[4:5]
	s_waitcnt vmcnt(1)
	v_mov_b32_e32 v11, v79
	v_mov_b32_e32 v12, v80
	;; [unrolled: 1-line block ×4, first 2 shown]
	v_fma_f64 v[79:80], v[48:49], v[15:16], v[6:7]
	v_add_co_u32 v6, vcc_lo, 0x3800, v245
	v_add_co_ci_u32_e32 v7, vcc_lo, 0, v246, vcc_lo
	buffer_store_dword v11, off, s[36:39], 0 offset:136 ; 4-byte Folded Spill
	buffer_store_dword v12, off, s[36:39], 0 offset:140 ; 4-byte Folded Spill
	;; [unrolled: 1-line block ×4, first 2 shown]
	v_fma_f64 v[81:82], v[50:51], v[15:16], -v[8:9]
	v_add_co_u32 v0, vcc_lo, v0, s1
	global_load_dwordx4 v[6:9], v[6:7], off offset:1344
	v_add_co_ci_u32_e32 v1, vcc_lo, s0, v1, vcc_lo
	global_load_dwordx4 v[16:19], v[0:1], off
	v_add_co_u32 v0, vcc_lo, v0, s6
	v_add_co_ci_u32_e32 v1, vcc_lo, s7, v1, vcc_lo
	s_waitcnt vmcnt(1)
	buffer_store_dword v6, off, s[36:39], 0 offset:120 ; 4-byte Folded Spill
	buffer_store_dword v7, off, s[36:39], 0 offset:124 ; 4-byte Folded Spill
	;; [unrolled: 1-line block ×4, first 2 shown]
	v_mul_f64 v[2:3], v[54:55], v[13:14]
	v_mul_f64 v[4:5], v[52:53], v[13:14]
	v_fma_f64 v[83:84], v[52:53], v[11:12], v[2:3]
	v_fma_f64 v[85:86], v[54:55], v[11:12], -v[4:5]
	s_waitcnt vmcnt(0)
	v_mul_f64 v[2:3], v[18:19], v[8:9]
	v_mul_f64 v[4:5], v[16:17], v[8:9]
	v_fma_f64 v[87:88], v[16:17], v[6:7], v[2:3]
	v_add_co_u32 v2, vcc_lo, 0x1800, v245
	v_add_co_ci_u32_e32 v3, vcc_lo, 0, v246, vcc_lo
	v_fma_f64 v[89:90], v[18:19], v[6:7], -v[4:5]
	s_clause 0x1
	global_load_dwordx4 v[11:14], v[2:3], off offset:128
	global_load_dwordx4 v[6:9], v[2:3], off offset:1696
	global_load_dwordx4 v[16:19], v[0:1], off
	v_add_co_u32 v0, vcc_lo, v0, s1
	v_add_co_ci_u32_e32 v1, vcc_lo, s0, v1, vcc_lo
	s_waitcnt vmcnt(2)
	buffer_store_dword v11, off, s[36:39], 0 offset:152 ; 4-byte Folded Spill
	buffer_store_dword v12, off, s[36:39], 0 offset:156 ; 4-byte Folded Spill
	;; [unrolled: 1-line block ×4, first 2 shown]
	s_waitcnt vmcnt(0)
	v_mul_f64 v[2:3], v[18:19], v[13:14]
	v_mul_f64 v[4:5], v[16:17], v[13:14]
	v_fma_f64 v[91:92], v[16:17], v[11:12], v[2:3]
	v_add_co_u32 v2, vcc_lo, 0x4000, v245
	v_add_co_ci_u32_e32 v3, vcc_lo, 0, v246, vcc_lo
	v_fma_f64 v[93:94], v[18:19], v[11:12], -v[4:5]
	global_load_dwordx4 v[11:14], v[2:3], off offset:864
	s_waitcnt vmcnt(0)
	buffer_store_dword v11, off, s[36:39], 0 offset:168 ; 4-byte Folded Spill
	buffer_store_dword v12, off, s[36:39], 0 offset:172 ; 4-byte Folded Spill
	;; [unrolled: 1-line block ×4, first 2 shown]
	global_load_dwordx4 v[16:19], v[0:1], off
	v_add_co_u32 v0, vcc_lo, v0, s6
	v_add_co_ci_u32_e32 v1, vcc_lo, s7, v1, vcc_lo
	s_waitcnt vmcnt(0)
	v_mul_f64 v[2:3], v[18:19], v[13:14]
	v_mul_f64 v[4:5], v[16:17], v[13:14]
	v_fma_f64 v[95:96], v[16:17], v[11:12], v[2:3]
	v_fma_f64 v[97:98], v[18:19], v[11:12], -v[4:5]
	global_load_dwordx4 v[16:19], v[0:1], off
	buffer_store_dword v6, off, s[36:39], 0 offset:184 ; 4-byte Folded Spill
	buffer_store_dword v7, off, s[36:39], 0 offset:188 ; 4-byte Folded Spill
	;; [unrolled: 1-line block ×4, first 2 shown]
	v_add_co_u32 v0, vcc_lo, v0, s1
	v_add_co_ci_u32_e32 v1, vcc_lo, s0, v1, vcc_lo
	s_waitcnt vmcnt(0)
	v_mul_f64 v[2:3], v[18:19], v[8:9]
	v_mul_f64 v[4:5], v[16:17], v[8:9]
	v_fma_f64 v[99:100], v[16:17], v[6:7], v[2:3]
	v_add_co_u32 v2, vcc_lo, 0x4800, v245
	v_add_co_ci_u32_e32 v3, vcc_lo, 0, v246, vcc_lo
	v_fma_f64 v[101:102], v[18:19], v[6:7], -v[4:5]
	s_clause 0x1
	global_load_dwordx4 v[11:14], v[2:3], off offset:384
	global_load_dwordx4 v[6:9], v[2:3], off offset:1952
	global_load_dwordx4 v[36:39], v[0:1], off
	v_add_co_u32 v0, vcc_lo, v0, s6
	v_add_co_ci_u32_e32 v1, vcc_lo, s7, v1, vcc_lo
	s_mov_b32 s6, 0xaaaaaaaa
	s_mov_b32 s7, 0xbff2aaaa
	s_waitcnt vmcnt(2)
	buffer_store_dword v11, off, s[36:39], 0 offset:200 ; 4-byte Folded Spill
	buffer_store_dword v12, off, s[36:39], 0 offset:204 ; 4-byte Folded Spill
	;; [unrolled: 1-line block ×4, first 2 shown]
	s_waitcnt vmcnt(0)
	v_mul_f64 v[2:3], v[38:39], v[13:14]
	v_mul_f64 v[4:5], v[36:37], v[13:14]
	v_fma_f64 v[103:104], v[36:37], v[11:12], v[2:3]
	v_add_co_u32 v2, vcc_lo, 0x2000, v245
	v_add_co_ci_u32_e32 v3, vcc_lo, 0, v246, vcc_lo
	v_fma_f64 v[105:106], v[38:39], v[11:12], -v[4:5]
	global_load_dwordx4 v[11:14], v[2:3], off offset:1216
	s_waitcnt vmcnt(0)
	buffer_store_dword v11, off, s[36:39], 0 offset:24 ; 4-byte Folded Spill
	buffer_store_dword v12, off, s[36:39], 0 offset:28 ; 4-byte Folded Spill
	;; [unrolled: 1-line block ×4, first 2 shown]
	global_load_dwordx4 v[107:110], v[0:1], off
	v_add_co_u32 v0, vcc_lo, v0, s1
	v_add_co_ci_u32_e32 v1, vcc_lo, s0, v1, vcc_lo
	global_load_dwordx4 v[111:114], v[0:1], off
	buffer_store_dword v6, off, s[36:39], 0 offset:8 ; 4-byte Folded Spill
	buffer_store_dword v7, off, s[36:39], 0 offset:12 ; 4-byte Folded Spill
	;; [unrolled: 1-line block ×4, first 2 shown]
	s_waitcnt vmcnt(1)
	v_mul_f64 v[2:3], v[109:110], v[13:14]
	v_mul_f64 v[4:5], v[107:108], v[13:14]
	s_waitcnt vmcnt(0)
	v_mul_f64 v[0:1], v[113:114], v[8:9]
	v_fma_f64 v[107:108], v[107:108], v[11:12], v[2:3]
	v_mul_f64 v[2:3], v[111:112], v[8:9]
	v_fma_f64 v[109:110], v[109:110], v[11:12], -v[4:5]
	v_fma_f64 v[111:112], v[111:112], v[6:7], v[0:1]
	v_and_b32_e32 v0, 1, v56
	v_cmp_eq_u32_e32 vcc_lo, 1, v0
	v_cndmask_b32_e64 v204, 0, 0x55c0, vcc_lo
	v_fma_f64 v[113:114], v[113:114], v[6:7], -v[2:3]
	v_add_nc_u32_e32 v242, v204, v10
	ds_write_b128 v242, v[57:60]
	ds_write_b128 v242, v[63:66] offset:10976
	ds_write_b128 v242, v[67:70] offset:1568
	;; [unrolled: 1-line block ×10, first 2 shown]
	s_load_dwordx4 s[0:3], s[2:3], 0x0
	ds_write_b128 v242, v[103:106] offset:18816
	ds_write_b128 v242, v[107:110] offset:9408
	;; [unrolled: 1-line block ×3, first 2 shown]
	s_waitcnt lgkmcnt(0)
	s_waitcnt_vscnt null, 0x0
	s_barrier
	buffer_gl0_inv
	ds_read_b128 v[56:59], v242 offset:10976
	ds_read_b128 v[63:66], v242
	ds_read_b128 v[67:70], v242 offset:1568
	ds_read_b128 v[71:74], v242 offset:9408
	;; [unrolled: 1-line block ×12, first 2 shown]
	v_lshl_add_u32 v0, v241, 5, v204
	s_waitcnt lgkmcnt(0)
	s_barrier
	buffer_gl0_inv
	buffer_store_dword v0, off, s[36:39], 0 offset:288 ; 4-byte Folded Spill
	v_add_f64 v[56:57], v[63:64], -v[56:57]
	v_add_f64 v[58:59], v[65:66], -v[58:59]
	;; [unrolled: 1-line block ×14, first 2 shown]
	v_fma_f64 v[63:64], v[63:64], 2.0, -v[56:57]
	v_fma_f64 v[65:66], v[65:66], 2.0, -v[58:59]
	;; [unrolled: 1-line block ×6, first 2 shown]
	ds_write_b128 v0, v[56:59] offset:16
	ds_write_b128 v0, v[63:66]
	v_lshl_add_u32 v0, v124, 5, v204
	v_fma_f64 v[87:88], v[87:88], 2.0, -v[91:92]
	v_fma_f64 v[89:90], v[89:90], 2.0, -v[93:94]
	;; [unrolled: 1-line block ×4, first 2 shown]
	buffer_store_dword v0, off, s[36:39], 0 offset:284 ; 4-byte Folded Spill
	ds_write_b128 v0, v[67:70]
	ds_write_b128 v0, v[75:78] offset:16
	v_lshlrev_b32_e32 v67, 1, v241
	v_fma_f64 v[103:104], v[103:104], 2.0, -v[107:108]
	v_fma_f64 v[105:106], v[105:106], 2.0, -v[109:110]
	;; [unrolled: 1-line block ×4, first 2 shown]
	v_add_nc_u32_e32 v60, 0x188, v67
	v_add_nc_u32_e32 v61, 0x24c, v67
	;; [unrolled: 1-line block ×5, first 2 shown]
	v_lshl_add_u32 v0, v60, 4, v204
	v_and_b32_e32 v66, 1, v241
	buffer_store_dword v0, off, s[36:39], 0 offset:280 ; 4-byte Folded Spill
	ds_write_b128 v0, v[83:86]
	ds_write_b128 v0, v[79:82] offset:16
	v_lshl_add_u32 v0, v61, 4, v204
	buffer_store_dword v0, off, s[36:39], 0 offset:276 ; 4-byte Folded Spill
	ds_write_b128 v0, v[87:90]
	ds_write_b128 v0, v[91:94] offset:16
	v_lshl_add_u32 v0, v63, 4, v204
	buffer_store_dword v0, off, s[36:39], 0 offset:272 ; 4-byte Folded Spill
	ds_write_b128 v0, v[99:102]
	ds_write_b128 v0, v[95:98] offset:16
	v_lshl_add_u32 v0, v64, 4, v204
	buffer_store_dword v0, off, s[36:39], 0 offset:268 ; 4-byte Folded Spill
	ds_write_b128 v0, v[103:106]
	ds_write_b128 v0, v[107:110] offset:16
	v_lshl_add_u32 v0, v65, 4, v204
	buffer_store_dword v0, off, s[36:39], 0 offset:264 ; 4-byte Folded Spill
	ds_write_b128 v0, v[71:74]
	ds_write_b128 v0, v[111:114] offset:16
	v_lshlrev_b32_e32 v0, 4, v66
	s_waitcnt lgkmcnt(0)
	s_waitcnt_vscnt null, 0x0
	s_barrier
	buffer_gl0_inv
	global_load_dwordx4 v[156:159], v0, s[10:11]
	ds_read_b128 v[56:59], v242 offset:10976
	ds_read_b128 v[68:71], v242 offset:9408
	s_waitcnt vmcnt(0) lgkmcnt(1)
	v_mul_f64 v[0:1], v[58:59], v[158:159]
	v_mul_f64 v[2:3], v[56:57], v[158:159]
	v_fma_f64 v[0:1], v[56:57], v[156:157], -v[0:1]
	v_fma_f64 v[2:3], v[58:59], v[156:157], v[2:3]
	ds_read_b128 v[56:59], v242 offset:12544
	ds_read_b128 v[72:75], v242 offset:14112
	s_waitcnt lgkmcnt(1)
	v_mul_f64 v[4:5], v[58:59], v[158:159]
	v_mul_f64 v[6:7], v[56:57], v[158:159]
	s_waitcnt lgkmcnt(0)
	v_mul_f64 v[8:9], v[74:75], v[158:159]
	v_mul_f64 v[10:11], v[72:73], v[158:159]
	v_fma_f64 v[4:5], v[56:57], v[156:157], -v[4:5]
	v_fma_f64 v[6:7], v[58:59], v[156:157], v[6:7]
	v_fma_f64 v[8:9], v[72:73], v[156:157], -v[8:9]
	v_fma_f64 v[10:11], v[74:75], v[156:157], v[10:11]
	ds_read_b128 v[56:59], v242 offset:15680
	ds_read_b128 v[72:75], v242 offset:17248
	s_waitcnt lgkmcnt(1)
	v_mul_f64 v[12:13], v[58:59], v[158:159]
	v_mul_f64 v[14:15], v[56:57], v[158:159]
	s_waitcnt lgkmcnt(0)
	v_mul_f64 v[16:17], v[74:75], v[158:159]
	v_mul_f64 v[18:19], v[72:73], v[158:159]
	v_fma_f64 v[12:13], v[56:57], v[156:157], -v[12:13]
	v_fma_f64 v[14:15], v[58:59], v[156:157], v[14:15]
	;; [unrolled: 12-line block ×3, first 2 shown]
	v_fma_f64 v[24:25], v[72:73], v[156:157], -v[24:25]
	v_fma_f64 v[26:27], v[74:75], v[156:157], v[26:27]
	ds_read_b128 v[56:59], v242
	ds_read_b128 v[72:75], v242 offset:1568
	ds_read_b128 v[84:87], v242 offset:3136
	;; [unrolled: 1-line block ×5, first 2 shown]
	s_waitcnt lgkmcnt(0)
	s_barrier
	buffer_gl0_inv
	v_add_f64 v[76:77], v[56:57], -v[0:1]
	v_add_f64 v[80:81], v[72:73], -v[4:5]
	;; [unrolled: 1-line block ×10, first 2 shown]
	v_and_or_b32 v0, 0xfc, v67, v66
	v_add_f64 v[112:113], v[104:105], -v[20:21]
	v_add_f64 v[114:115], v[106:107], -v[22:23]
	;; [unrolled: 1-line block ×4, first 2 shown]
	v_lshl_add_u32 v249, v0, 4, v204
	v_lshlrev_b32_e32 v0, 1, v124
	v_mad_u64_u32 v[24:25], null, 0x60, v28, s[10:11]
	v_and_or_b32 v0, 0x1fc, v0, v66
	v_fma_f64 v[56:57], v[56:57], 2.0, -v[76:77]
	v_fma_f64 v[72:73], v[72:73], 2.0, -v[80:81]
	;; [unrolled: 1-line block ×10, first 2 shown]
	v_lshl_add_u32 v251, v0, 4, v204
	v_and_or_b32 v0, 0x3fc, v60, v66
	v_fma_f64 v[104:105], v[104:105], 2.0, -v[112:113]
	v_fma_f64 v[106:107], v[106:107], 2.0, -v[114:115]
	;; [unrolled: 1-line block ×4, first 2 shown]
	v_lshl_add_u32 v253, v0, 4, v204
	v_and_or_b32 v0, 0x3fc, v61, v66
	ds_write_b128 v249, v[76:79] offset:32
	ds_write_b128 v249, v[56:59]
	v_lshl_add_u32 v255, v0, 4, v204
	v_and_or_b32 v0, 0x7fc, v63, v66
	ds_write_b128 v251, v[72:75]
	ds_write_b128 v251, v[80:83] offset:32
	ds_write_b128 v253, v[84:87]
	ds_write_b128 v253, v[92:95] offset:32
	;; [unrolled: 2-line block ×3, first 2 shown]
	v_lshl_add_u32 v0, v0, 4, v204
	v_and_b32_e32 v63, 3, v241
	buffer_store_dword v0, off, s[36:39], 0 offset:300 ; 4-byte Folded Spill
	ds_write_b128 v0, v[100:103]
	ds_write_b128 v0, v[108:111] offset:32
	v_and_or_b32 v0, 0x7fc, v64, v66
	v_mad_u64_u32 v[60:61], null, 0x60, v63, s[10:11]
	v_or_b32_e32 v29, v29, v63
	v_lshl_add_u32 v0, v0, 4, v204
	v_lshl_add_u32 v243, v29, 4, v204
	buffer_store_dword v0, off, s[36:39], 0 offset:296 ; 4-byte Folded Spill
	ds_write_b128 v0, v[104:107]
	ds_write_b128 v0, v[112:115] offset:32
	v_and_or_b32 v0, 0x5fc, v65, v66
	v_lshl_add_u32 v0, v0, 4, v204
	buffer_store_dword v0, off, s[36:39], 0 offset:292 ; 4-byte Folded Spill
	ds_write_b128 v0, v[68:71]
	ds_write_b128 v0, v[116:119] offset:32
	s_waitcnt lgkmcnt(0)
	s_waitcnt_vscnt null, 0x0
	s_barrier
	buffer_gl0_inv
	s_clause 0x1
	global_load_dwordx4 v[4:7], v[60:61], off offset:32
	global_load_dwordx4 v[72:75], v[60:61], off offset:48
	ds_read_b128 v[64:67], v242 offset:3136
	ds_read_b128 v[80:83], v242 offset:4704
	s_waitcnt vmcnt(1)
	buffer_store_dword v4, off, s[36:39], 0 offset:232 ; 4-byte Folded Spill
	buffer_store_dword v5, off, s[36:39], 0 offset:236 ; 4-byte Folded Spill
	;; [unrolled: 1-line block ×4, first 2 shown]
	s_waitcnt lgkmcnt(1)
	v_mul_f64 v[0:1], v[66:67], v[6:7]
	v_mul_f64 v[2:3], v[64:65], v[6:7]
	v_fma_f64 v[0:1], v[64:65], v[4:5], -v[0:1]
	v_fma_f64 v[2:3], v[66:67], v[4:5], v[2:3]
	ds_read_b128 v[64:67], v242 offset:6272
	ds_read_b128 v[92:95], v242 offset:7840
	s_waitcnt vmcnt(0) lgkmcnt(1)
	v_mul_f64 v[4:5], v[66:67], v[74:75]
	v_mul_f64 v[6:7], v[64:65], v[74:75]
	v_fma_f64 v[4:5], v[64:65], v[72:73], -v[4:5]
	v_fma_f64 v[6:7], v[66:67], v[72:73], v[6:7]
	s_clause 0x1
	global_load_dwordx4 v[64:67], v[60:61], off offset:112
	global_load_dwordx4 v[68:71], v[60:61], off offset:96
	ds_read_b128 v[76:79], v242 offset:18816
	ds_read_b128 v[100:103], v242 offset:20384
	s_waitcnt vmcnt(1) lgkmcnt(1)
	v_mul_f64 v[8:9], v[78:79], v[66:67]
	v_mul_f64 v[10:11], v[76:77], v[66:67]
	v_fma_f64 v[8:9], v[76:77], v[64:65], -v[8:9]
	v_fma_f64 v[10:11], v[78:79], v[64:65], v[10:11]
	ds_read_b128 v[76:79], v242 offset:15680
	ds_read_b128 v[108:111], v242 offset:17248
	s_waitcnt vmcnt(0) lgkmcnt(1)
	v_mul_f64 v[12:13], v[78:79], v[70:71]
	v_mul_f64 v[14:15], v[76:77], v[70:71]
	v_add_f64 v[125:126], v[2:3], v[10:11]
	v_add_f64 v[2:3], v[2:3], -v[10:11]
	v_fma_f64 v[12:13], v[76:77], v[68:69], -v[12:13]
	v_fma_f64 v[14:15], v[78:79], v[68:69], v[14:15]
	s_clause 0x1
	global_load_dwordx4 v[104:107], v[60:61], off offset:64
	global_load_dwordx4 v[76:79], v[60:61], off offset:80
	ds_read_b128 v[84:87], v242 offset:9408
	ds_read_b128 v[112:115], v242 offset:10976
	v_add_f64 v[127:128], v[6:7], v[14:15]
	v_add_f64 v[6:7], v[6:7], -v[14:15]
	s_waitcnt vmcnt(1) lgkmcnt(1)
	v_mul_f64 v[16:17], v[86:87], v[106:107]
	v_mul_f64 v[18:19], v[84:85], v[106:107]
	v_fma_f64 v[16:17], v[84:85], v[104:105], -v[16:17]
	v_fma_f64 v[18:19], v[86:87], v[104:105], v[18:19]
	ds_read_b128 v[84:87], v242 offset:12544
	ds_read_b128 v[116:119], v242 offset:14112
	s_waitcnt vmcnt(0) lgkmcnt(1)
	v_mul_f64 v[20:21], v[86:87], v[78:79]
	v_mul_f64 v[22:23], v[84:85], v[78:79]
	v_fma_f64 v[20:21], v[84:85], v[76:77], -v[20:21]
	v_fma_f64 v[22:23], v[86:87], v[76:77], v[22:23]
	s_clause 0x1
	global_load_dwordx4 v[96:99], v[24:25], off offset:32
	global_load_dwordx4 v[84:87], v[24:25], off offset:48
	v_add_f64 v[122:123], v[16:17], v[20:21]
	v_add_f64 v[129:130], v[18:19], v[22:23]
	s_waitcnt vmcnt(1)
	v_mul_f64 v[26:27], v[82:83], v[98:99]
	v_mul_f64 v[60:61], v[80:81], v[98:99]
	v_fma_f64 v[26:27], v[80:81], v[96:97], -v[26:27]
	v_fma_f64 v[60:61], v[82:83], v[96:97], v[60:61]
	s_clause 0x1
	global_load_dwordx4 v[88:91], v[24:25], off offset:112
	global_load_dwordx4 v[80:83], v[24:25], off offset:96
	s_waitcnt vmcnt(1)
	v_mul_f64 v[120:121], v[102:103], v[90:91]
	v_fma_f64 v[137:138], v[100:101], v[88:89], -v[120:121]
	v_mul_f64 v[100:101], v[100:101], v[90:91]
	v_add_f64 v[120:121], v[0:1], v[8:9]
	v_add_f64 v[0:1], v[0:1], -v[8:9]
	v_add_f64 v[8:9], v[22:23], -v[18:19]
	;; [unrolled: 1-line block ×3, first 2 shown]
	v_add_f64 v[160:161], v[26:27], v[137:138]
	v_fma_f64 v[139:140], v[102:103], v[88:89], v[100:101]
	v_mul_f64 v[100:101], v[94:95], v[86:87]
	v_add_f64 v[168:169], v[60:61], v[139:140]
	v_fma_f64 v[141:142], v[92:93], v[84:85], -v[100:101]
	v_mul_f64 v[92:93], v[92:93], v[86:87]
	v_fma_f64 v[143:144], v[94:95], v[84:85], v[92:93]
	s_waitcnt vmcnt(0)
	v_mul_f64 v[92:93], v[110:111], v[82:83]
	v_fma_f64 v[145:146], v[108:109], v[80:81], -v[92:93]
	v_mul_f64 v[92:93], v[108:109], v[82:83]
	v_add_f64 v[162:163], v[141:142], v[145:146]
	v_fma_f64 v[147:148], v[110:111], v[80:81], v[92:93]
	s_clause 0x1
	global_load_dwordx4 v[108:111], v[24:25], off offset:64
	global_load_dwordx4 v[100:103], v[24:25], off offset:80
	v_add_f64 v[133:134], v[162:163], v[160:161]
	v_add_f64 v[170:171], v[143:144], v[147:148]
	s_waitcnt vmcnt(1)
	v_mul_f64 v[92:93], v[112:113], v[110:111]
	v_mul_f64 v[24:25], v[114:115], v[110:111]
	v_fma_f64 v[149:150], v[114:115], v[108:109], v[92:93]
	s_waitcnt vmcnt(0) lgkmcnt(0)
	v_mul_f64 v[92:93], v[118:119], v[102:103]
	v_fma_f64 v[24:25], v[112:113], v[108:109], -v[24:25]
	v_fma_f64 v[151:152], v[116:117], v[100:101], -v[92:93]
	v_mul_f64 v[92:93], v[116:117], v[102:103]
	v_add_f64 v[116:117], v[4:5], v[12:13]
	v_add_f64 v[4:5], v[4:5], -v[12:13]
	v_add_f64 v[12:13], v[20:21], -v[16:17]
	;; [unrolled: 1-line block ×3, first 2 shown]
	v_add_f64 v[164:165], v[24:25], v[151:152]
	v_fma_f64 v[153:154], v[118:119], v[100:101], v[92:93]
	v_add_f64 v[92:93], v[116:117], v[120:121]
	v_add_f64 v[10:11], v[116:117], -v[120:121]
	v_add_f64 v[22:23], v[12:13], -v[4:5]
	v_add_f64 v[20:21], v[12:13], v[4:5]
	v_add_f64 v[4:5], v[4:5], -v[0:1]
	v_add_f64 v[14:15], v[122:123], -v[116:117]
	;; [unrolled: 1-line block ×3, first 2 shown]
	v_add_f64 v[166:167], v[164:165], v[133:134]
	v_add_f64 v[172:173], v[149:150], v[153:154]
	;; [unrolled: 1-line block ×5, first 2 shown]
	v_mul_f64 v[22:23], v[22:23], s[20:21]
	v_add_f64 v[20:21], v[20:21], v[0:1]
	v_add_f64 v[122:123], v[125:126], -v[129:130]
	v_add_f64 v[0:1], v[0:1], -v[12:13]
	v_add_f64 v[131:132], v[129:130], v[92:93]
	ds_read_b128 v[92:95], v242
	ds_read_b128 v[112:115], v242 offset:1568
	s_waitcnt lgkmcnt(0)
	s_waitcnt_vscnt null, 0x0
	s_barrier
	buffer_gl0_inv
	v_add_f64 v[174:175], v[172:173], v[133:134]
	v_fma_f64 v[116:117], v[4:5], s[14:15], -v[22:23]
	v_mul_f64 v[4:5], v[4:5], s[16:17]
	v_mul_f64 v[12:13], v[122:123], s[24:25]
	v_add_f64 v[92:93], v[92:93], v[118:119]
	v_add_f64 v[112:113], v[112:113], v[166:167]
	;; [unrolled: 1-line block ×4, first 2 shown]
	v_fma_f64 v[4:5], v[0:1], s[22:23], v[4:5]
	v_fma_f64 v[0:1], v[0:1], s[28:29], v[22:23]
	;; [unrolled: 1-line block ×5, first 2 shown]
	ds_write_b128 v243, v[92:95]
	v_add_f64 v[94:95], v[8:9], -v[6:7]
	v_add_f64 v[92:93], v[8:9], v[6:7]
	v_add_f64 v[6:7], v[6:7], -v[2:3]
	v_fma_f64 v[4:5], v[20:21], s[12:13], v[4:5]
	v_fma_f64 v[0:1], v[20:21], s[12:13], v[0:1]
	v_mul_f64 v[176:177], v[94:95], s[20:21]
	v_add_f64 v[135:136], v[92:93], v[2:3]
	v_mul_f64 v[92:93], v[14:15], s[8:9]
	v_mul_f64 v[94:95], v[18:19], s[8:9]
	v_add_f64 v[2:3], v[2:3], -v[8:9]
	v_mul_f64 v[8:9], v[120:121], s[24:25]
	v_fma_f64 v[116:117], v[6:7], s[14:15], -v[176:177]
	v_mul_f64 v[6:7], v[6:7], s[16:17]
	v_fma_f64 v[92:93], v[10:11], s[18:19], -v[92:93]
	v_fma_f64 v[94:95], v[16:17], s[18:19], -v[94:95]
	;; [unrolled: 1-line block ×4, first 2 shown]
	v_fma_f64 v[116:117], v[135:136], s[12:13], v[116:117]
	v_fma_f64 v[6:7], v[2:3], s[22:23], v[6:7]
	v_add_f64 v[127:128], v[92:93], v[133:134]
	v_fma_f64 v[2:3], v[2:3], s[28:29], v[176:177]
	v_add_f64 v[16:17], v[16:17], v[131:132]
	v_add_f64 v[10:11], v[10:11], v[133:134]
	;; [unrolled: 1-line block ×3, first 2 shown]
	v_fma_f64 v[6:7], v[135:136], s[12:13], v[6:7]
	v_add_f64 v[92:93], v[127:128], -v[116:117]
	v_add_f64 v[116:117], v[116:117], v[127:128]
	v_add_f64 v[122:123], v[16:17], -v[4:5]
	v_add_f64 v[127:128], v[4:5], v[16:17]
	v_fma_f64 v[4:5], v[14:15], s[8:9], v[8:9]
	v_fma_f64 v[2:3], v[135:136], s[12:13], v[2:3]
	v_add_f64 v[8:9], v[153:154], -v[149:150]
	v_add_f64 v[14:15], v[164:165], -v[162:163]
	;; [unrolled: 1-line block ×3, first 2 shown]
	v_fma_f64 v[153:154], v[166:167], s[6:7], v[112:113]
	v_add_f64 v[94:95], v[118:119], v[178:179]
	v_add_f64 v[118:119], v[178:179], -v[118:119]
	v_add_f64 v[120:121], v[6:7], v[10:11]
	v_add_f64 v[125:126], v[10:11], -v[6:7]
	v_fma_f64 v[6:7], v[18:19], s[8:9], v[12:13]
	v_add_f64 v[10:11], v[60:61], -v[139:140]
	v_add_f64 v[18:19], v[172:173], -v[170:171]
	v_add_f64 v[4:5], v[4:5], v[133:134]
	v_add_f64 v[12:13], v[162:163], -v[160:161]
	v_fma_f64 v[162:163], v[174:175], s[6:7], v[114:115]
	v_mul_f64 v[60:61], v[14:15], s[8:9]
	v_add_f64 v[6:7], v[6:7], v[131:132]
	v_add_f64 v[129:130], v[2:3], v[4:5]
	v_add_f64 v[133:134], v[4:5], -v[2:3]
	v_add_f64 v[2:3], v[151:152], -v[24:25]
	;; [unrolled: 1-line block ×3, first 2 shown]
	v_mul_f64 v[137:138], v[18:19], s[8:9]
	v_fma_f64 v[60:61], v[12:13], s[18:19], -v[60:61]
	v_add_f64 v[131:132], v[6:7], -v[0:1]
	v_add_f64 v[135:136], v[0:1], v[6:7]
	v_add_f64 v[0:1], v[141:142], -v[145:146]
	v_add_f64 v[6:7], v[143:144], -v[147:148]
	ds_write_b128 v243, v[129:132] offset:64
	ds_write_b128 v243, v[120:123] offset:128
	;; [unrolled: 1-line block ×6, first 2 shown]
	v_fma_f64 v[137:138], v[16:17], s[18:19], -v[137:138]
	v_add_f64 v[22:23], v[2:3], -v[0:1]
	v_add_f64 v[20:21], v[2:3], v[0:1]
	v_add_f64 v[0:1], v[0:1], -v[4:5]
	v_add_f64 v[26:27], v[8:9], -v[6:7]
	v_add_f64 v[24:25], v[8:9], v[6:7]
	v_add_f64 v[6:7], v[6:7], -v[10:11]
	v_add_f64 v[60:61], v[60:61], v[153:154]
	;; [unrolled: 2-line block ×3, first 2 shown]
	v_mul_f64 v[22:23], v[22:23], s[20:21]
	v_add_f64 v[20:21], v[20:21], v[4:5]
	v_add_f64 v[4:5], v[10:11], -v[8:9]
	v_mul_f64 v[26:27], v[26:27], s[20:21]
	v_add_f64 v[24:25], v[24:25], v[10:11]
	v_fma_f64 v[139:140], v[0:1], s[14:15], -v[22:23]
	v_mul_f64 v[0:1], v[0:1], s[16:17]
	v_fma_f64 v[143:144], v[20:21], s[12:13], v[139:140]
	v_fma_f64 v[139:140], v[6:7], s[14:15], -v[26:27]
	v_mul_f64 v[6:7], v[6:7], s[16:17]
	v_fma_f64 v[0:1], v[2:3], s[22:23], v[0:1]
	v_fma_f64 v[141:142], v[24:25], s[12:13], v[139:140]
	v_add_f64 v[139:140], v[143:144], v[145:146]
	v_add_f64 v[143:144], v[145:146], -v[143:144]
	v_add_f64 v[145:146], v[168:169], -v[172:173]
	v_fma_f64 v[6:7], v[4:5], s[22:23], v[6:7]
	v_fma_f64 v[0:1], v[20:21], s[12:13], v[0:1]
	v_add_f64 v[137:138], v[60:61], -v[141:142]
	v_add_f64 v[141:142], v[141:142], v[60:61]
	v_add_f64 v[60:61], v[160:161], -v[164:165]
	v_mul_f64 v[10:11], v[145:146], s[24:25]
	v_fma_f64 v[6:7], v[24:25], s[12:13], v[6:7]
	v_mul_f64 v[8:9], v[60:61], s[24:25]
	v_fma_f64 v[16:17], v[16:17], s[26:27], -v[10:11]
	v_fma_f64 v[12:13], v[12:13], s[26:27], -v[8:9]
	v_add_f64 v[16:17], v[16:17], v[162:163]
	v_add_f64 v[12:13], v[12:13], v[153:154]
	v_add_f64 v[147:148], v[16:17], -v[0:1]
	v_add_f64 v[151:152], v[0:1], v[16:17]
	v_fma_f64 v[0:1], v[2:3], s[28:29], v[22:23]
	v_fma_f64 v[2:3], v[4:5], s[28:29], v[26:27]
	;; [unrolled: 1-line block ×3, first 2 shown]
	v_add_f64 v[145:146], v[6:7], v[12:13]
	v_add_f64 v[149:150], v[12:13], -v[6:7]
	v_fma_f64 v[6:7], v[18:19], s[8:9], v[10:11]
	v_fma_f64 v[0:1], v[20:21], s[12:13], v[0:1]
	;; [unrolled: 1-line block ×3, first 2 shown]
	v_add_f64 v[4:5], v[4:5], v[153:154]
	v_add_f64 v[6:7], v[6:7], v[162:163]
	;; [unrolled: 1-line block ×3, first 2 shown]
	v_add_f64 v[164:165], v[4:5], -v[2:3]
	v_add_f64 v[162:163], v[6:7], -v[0:1]
	v_add_f64 v[166:167], v[0:1], v[6:7]
	v_lshrrev_b32_e32 v0, 2, v124
	v_mul_u32_u24_e32 v0, 28, v0
	v_or_b32_e32 v0, v0, v28
	v_mov_b32_e32 v28, 0xc4
	v_lshl_add_u32 v244, v0, 4, v204
	v_lshrrev_b16 v0, 2, v62
	ds_write_b128 v244, v[112:115]
	ds_write_b128 v244, v[160:163] offset:64
	ds_write_b128 v244, v[145:148] offset:128
	;; [unrolled: 1-line block ×6, first 2 shown]
	v_and_b32_e32 v0, 63, v0
	s_waitcnt lgkmcnt(0)
	s_barrier
	buffer_gl0_inv
	v_mul_lo_u16 v0, v0, 37
	v_lshrrev_b16 v254, 8, v0
	v_mul_lo_u16 v0, v254, 28
	v_sub_nc_u16 v0, v62, v0
	v_and_b32_e32 v247, 0xff, v0
	v_mad_u64_u32 v[0:1], null, 0x60, v247, s[10:11]
	s_clause 0x1
	global_load_dwordx4 v[4:7], v[0:1], off offset:416
	global_load_dwordx4 v[92:95], v[0:1], off offset:432
	ds_read_b128 v[112:115], v242 offset:3136
	ds_read_b128 v[136:139], v242 offset:4704
	s_waitcnt vmcnt(1)
	buffer_store_dword v4, off, s[36:39], 0 offset:248 ; 4-byte Folded Spill
	buffer_store_dword v5, off, s[36:39], 0 offset:252 ; 4-byte Folded Spill
	buffer_store_dword v6, off, s[36:39], 0 offset:256 ; 4-byte Folded Spill
	buffer_store_dword v7, off, s[36:39], 0 offset:260 ; 4-byte Folded Spill
	s_waitcnt lgkmcnt(1)
	v_mul_f64 v[2:3], v[114:115], v[6:7]
	v_fma_f64 v[162:163], v[112:113], v[4:5], -v[2:3]
	v_mul_f64 v[2:3], v[112:113], v[6:7]
	v_fma_f64 v[160:161], v[114:115], v[4:5], v[2:3]
	ds_read_b128 v[112:115], v242 offset:6272
	ds_read_b128 v[144:147], v242 offset:7840
	s_waitcnt vmcnt(0) lgkmcnt(1)
	v_mul_f64 v[2:3], v[114:115], v[94:95]
	v_fma_f64 v[166:167], v[112:113], v[92:93], -v[2:3]
	v_mul_f64 v[2:3], v[112:113], v[94:95]
	v_fma_f64 v[164:165], v[114:115], v[92:93], v[2:3]
	s_clause 0x1
	global_load_dwordx4 v[116:119], v[0:1], off offset:496
	global_load_dwordx4 v[112:115], v[0:1], off offset:480
	ds_read_b128 v[120:123], v242 offset:18816
	ds_read_b128 v[152:155], v242 offset:20384
	s_waitcnt vmcnt(1) lgkmcnt(1)
	v_mul_f64 v[2:3], v[122:123], v[118:119]
	v_fma_f64 v[192:193], v[120:121], v[116:117], -v[2:3]
	v_mul_f64 v[2:3], v[120:121], v[118:119]
	v_add_f64 v[14:15], v[162:163], -v[192:193]
	v_fma_f64 v[188:189], v[122:123], v[116:117], v[2:3]
	ds_read_b128 v[120:123], v242 offset:15680
	ds_read_b128 v[209:212], v242 offset:17248
	s_waitcnt vmcnt(0) lgkmcnt(1)
	v_mul_f64 v[2:3], v[122:123], v[114:115]
	v_add_f64 v[213:214], v[160:161], v[188:189]
	v_add_f64 v[18:19], v[160:161], -v[188:189]
	v_fma_f64 v[198:199], v[120:121], v[112:113], -v[2:3]
	v_mul_f64 v[2:3], v[120:121], v[114:115]
	v_add_f64 v[217:218], v[166:167], v[198:199]
	v_fma_f64 v[196:197], v[122:123], v[112:113], v[2:3]
	s_clause 0x1
	global_load_dwordx4 v[128:131], v[0:1], off offset:448
	global_load_dwordx4 v[120:123], v[0:1], off offset:464
	ds_read_b128 v[132:135], v242 offset:9408
	ds_read_b128 v[148:151], v242 offset:10976
	v_add_f64 v[219:220], v[164:165], v[196:197]
	v_add_f64 v[24:25], v[219:220], -v[213:214]
	s_waitcnt vmcnt(1) lgkmcnt(1)
	v_mul_f64 v[0:1], v[134:135], v[130:131]
	v_fma_f64 v[202:203], v[132:133], v[128:129], -v[0:1]
	v_mul_f64 v[0:1], v[132:133], v[130:131]
	v_fma_f64 v[200:201], v[134:135], v[128:129], v[0:1]
	ds_read_b128 v[132:135], v242 offset:12544
	ds_read_b128 v[184:187], v242 offset:14112
	s_waitcnt vmcnt(0) lgkmcnt(1)
	v_mul_f64 v[0:1], v[134:135], v[122:123]
	v_fma_f64 v[207:208], v[132:133], v[120:121], -v[0:1]
	v_mul_f64 v[0:1], v[132:133], v[122:123]
	v_add_f64 v[12:13], v[207:208], -v[202:203]
	v_fma_f64 v[205:206], v[134:135], v[120:121], v[0:1]
	v_lshrrev_b16 v0, 2, v124
	v_and_b32_e32 v0, 63, v0
	v_mul_lo_u16 v0, v0, 37
	v_lshrrev_b16 v252, 8, v0
	v_mul_lo_u16 v0, v252, 28
	v_add_f64 v[215:216], v[200:201], v[205:206]
	v_add_f64 v[16:17], v[205:206], -v[200:201]
	v_sub_nc_u16 v0, v124, v0
	v_and_b32_e32 v250, 0xff, v0
	v_mad_u64_u32 v[0:1], null, 0x60, v250, s[10:11]
	s_clause 0x1
	global_load_dwordx4 v[140:143], v[0:1], off offset:416
	global_load_dwordx4 v[132:135], v[0:1], off offset:432
	v_add_f64 v[26:27], v[215:216], -v[219:220]
	s_waitcnt vmcnt(1)
	v_mul_f64 v[2:3], v[138:139], v[142:143]
	v_fma_f64 v[170:171], v[136:137], v[140:141], -v[2:3]
	v_mul_f64 v[2:3], v[136:137], v[142:143]
	v_fma_f64 v[168:169], v[138:139], v[140:141], v[2:3]
	s_clause 0x1
	global_load_dwordx4 v[136:139], v[0:1], off offset:448
	global_load_dwordx4 v[124:127], v[0:1], off offset:464
	s_waitcnt vmcnt(2)
	v_mul_f64 v[2:3], v[146:147], v[134:135]
	v_fma_f64 v[174:175], v[144:145], v[132:133], -v[2:3]
	v_mul_f64 v[2:3], v[144:145], v[134:135]
	v_fma_f64 v[172:173], v[146:147], v[132:133], v[2:3]
	s_waitcnt vmcnt(1)
	v_mul_f64 v[2:3], v[150:151], v[138:139]
	v_fma_f64 v[178:179], v[148:149], v[136:137], -v[2:3]
	v_mul_f64 v[2:3], v[148:149], v[138:139]
	v_fma_f64 v[176:177], v[150:151], v[136:137], v[2:3]
	s_clause 0x1
	global_load_dwordx4 v[144:147], v[0:1], off offset:480
	global_load_dwordx4 v[148:151], v[0:1], off offset:496
	s_waitcnt vmcnt(2) lgkmcnt(0)
	v_mul_f64 v[2:3], v[186:187], v[126:127]
	v_fma_f64 v[182:183], v[184:185], v[124:125], -v[2:3]
	v_mul_f64 v[2:3], v[184:185], v[126:127]
	v_add_f64 v[227:228], v[178:179], v[182:183]
	v_fma_f64 v[180:181], v[186:187], v[124:125], v[2:3]
	v_add_f64 v[231:232], v[176:177], v[180:181]
	s_waitcnt vmcnt(1)
	v_mul_f64 v[0:1], v[211:212], v[146:147]
	v_fma_f64 v[186:187], v[209:210], v[144:145], -v[0:1]
	v_mul_f64 v[0:1], v[209:210], v[146:147]
	v_add_f64 v[209:210], v[162:163], v[192:193]
	v_add_f64 v[237:238], v[174:175], v[186:187]
	v_fma_f64 v[184:185], v[211:212], v[144:145], v[0:1]
	s_waitcnt vmcnt(0)
	v_mul_f64 v[0:1], v[154:155], v[150:151]
	v_add_f64 v[211:212], v[202:203], v[207:208]
	v_add_f64 v[20:21], v[217:218], -v[209:210]
	v_add_f64 v[239:240], v[172:173], v[184:185]
	v_fma_f64 v[194:195], v[152:153], v[148:149], -v[0:1]
	v_mul_f64 v[0:1], v[152:153], v[150:151]
	v_add_f64 v[22:23], v[211:212], -v[217:218]
	v_add_f64 v[225:226], v[170:171], v[194:195]
	v_fma_f64 v[190:191], v[154:155], v[148:149], v[0:1]
	v_add_f64 v[0:1], v[217:218], v[209:210]
	v_add_f64 v[8:9], v[237:238], v[225:226]
	;; [unrolled: 1-line block ×8, first 2 shown]
	ds_read_b128 v[152:155], v242
	ds_read_b128 v[0:3], v242 offset:1568
	s_waitcnt lgkmcnt(0)
	s_waitcnt_vscnt null, 0x0
	s_barrier
	buffer_gl0_inv
	v_add_f64 v[4:5], v[152:153], v[221:222]
	v_add_f64 v[152:153], v[0:1], v[233:234]
	v_mul_u32_u24_sdwa v0, v254, v28 dst_sel:DWORD dst_unused:UNUSED_PAD src0_sel:WORD_0 src1_sel:DWORD
	v_add_f64 v[6:7], v[154:155], v[223:224]
	v_add_f64 v[235:236], v[231:232], v[8:9]
	v_add_nc_u32_e32 v0, v0, v247
	v_lshl_add_u32 v254, v0, 4, v204
	v_add_f64 v[0:1], v[166:167], -v[198:199]
	v_fma_f64 v[8:9], v[221:222], s[6:7], v[4:5]
	v_fma_f64 v[10:11], v[223:224], s[6:7], v[6:7]
	v_add_f64 v[154:155], v[2:3], v[235:236]
	ds_write_b128 v254, v[4:7]
	v_add_f64 v[2:3], v[164:165], -v[196:197]
	v_add_f64 v[6:7], v[12:13], -v[0:1]
	v_add_f64 v[4:5], v[12:13], v[0:1]
	v_add_f64 v[160:161], v[0:1], -v[14:15]
	v_add_f64 v[12:13], v[14:15], -v[12:13]
	v_add_f64 v[0:1], v[16:17], v[2:3]
	v_add_f64 v[162:163], v[16:17], -v[2:3]
	v_add_f64 v[164:165], v[2:3], -v[18:19]
	v_mul_f64 v[2:3], v[26:27], s[8:9]
	v_mul_f64 v[196:197], v[6:7], s[20:21]
	v_add_f64 v[188:189], v[4:5], v[14:15]
	v_add_f64 v[14:15], v[18:19], -v[16:17]
	v_mul_f64 v[16:17], v[160:161], s[16:17]
	v_add_f64 v[192:193], v[0:1], v[18:19]
	v_mul_f64 v[198:199], v[162:163], s[20:21]
	v_mul_f64 v[0:1], v[22:23], s[8:9]
	v_fma_f64 v[2:3], v[24:25], s[18:19], -v[2:3]
	v_mul_f64 v[18:19], v[164:165], s[16:17]
	v_fma_f64 v[4:5], v[160:161], s[14:15], -v[196:197]
	v_fma_f64 v[16:17], v[12:13], s[22:23], v[16:17]
	v_fma_f64 v[12:13], v[12:13], s[28:29], v[196:197]
	v_fma_f64 v[0:1], v[20:21], s[18:19], -v[0:1]
	v_add_f64 v[166:167], v[2:3], v[10:11]
	v_fma_f64 v[18:19], v[14:15], s[22:23], v[18:19]
	v_fma_f64 v[14:15], v[14:15], s[28:29], v[198:199]
	v_fma_f64 v[6:7], v[188:189], s[12:13], v[4:5]
	v_fma_f64 v[4:5], v[164:165], s[14:15], -v[198:199]
	v_fma_f64 v[16:17], v[188:189], s[12:13], v[16:17]
	v_fma_f64 v[12:13], v[188:189], s[12:13], v[12:13]
	v_add_f64 v[162:163], v[0:1], v[8:9]
	v_fma_f64 v[18:19], v[192:193], s[12:13], v[18:19]
	v_fma_f64 v[14:15], v[192:193], s[12:13], v[14:15]
	v_add_f64 v[2:3], v[6:7], v[166:167]
	v_fma_f64 v[4:5], v[192:193], s[12:13], v[4:5]
	v_add_f64 v[6:7], v[166:167], -v[6:7]
	v_add_f64 v[166:167], v[213:214], -v[215:216]
	v_fma_f64 v[192:193], v[233:234], s[6:7], v[152:153]
	v_add_f64 v[0:1], v[162:163], -v[4:5]
	v_add_f64 v[4:5], v[4:5], v[162:163]
	v_add_f64 v[162:163], v[209:210], -v[211:212]
	v_mul_f64 v[202:203], v[166:167], s[24:25]
	v_mul_f64 v[200:201], v[162:163], s[24:25]
	v_fma_f64 v[24:25], v[24:25], s[26:27], -v[202:203]
	v_fma_f64 v[20:21], v[20:21], s[26:27], -v[200:201]
	v_add_f64 v[24:25], v[24:25], v[10:11]
	v_add_f64 v[20:21], v[20:21], v[8:9]
	v_add_f64 v[162:163], v[24:25], -v[16:17]
	v_add_f64 v[166:167], v[16:17], v[24:25]
	v_fma_f64 v[16:17], v[22:23], s[8:9], v[200:201]
	v_add_f64 v[22:23], v[227:228], -v[237:238]
	v_add_f64 v[24:25], v[239:240], -v[229:230]
	v_add_f64 v[160:161], v[18:19], v[20:21]
	v_add_f64 v[164:165], v[20:21], -v[18:19]
	v_fma_f64 v[18:19], v[26:27], s[8:9], v[202:203]
	v_add_f64 v[8:9], v[16:17], v[8:9]
	v_add_f64 v[16:17], v[180:181], -v[176:177]
	v_add_f64 v[26:27], v[231:232], -v[239:240]
	;; [unrolled: 1-line block ×3, first 2 shown]
	v_add_f64 v[10:11], v[18:19], v[10:11]
	v_add_f64 v[196:197], v[14:15], v[8:9]
	v_add_f64 v[200:201], v[8:9], -v[14:15]
	v_add_f64 v[8:9], v[174:175], -v[186:187]
	;; [unrolled: 1-line block ×5, first 2 shown]
	v_add_f64 v[202:203], v[12:13], v[10:11]
	v_add_f64 v[10:11], v[182:183], -v[178:179]
	v_add_f64 v[12:13], v[170:171], -v[194:195]
	v_add_f64 v[172:173], v[16:17], v[14:15]
	v_add_f64 v[174:175], v[16:17], -v[14:15]
	v_add_f64 v[14:15], v[14:15], -v[18:19]
	v_fma_f64 v[194:195], v[235:236], s[6:7], v[154:155]
	ds_write_b128 v254, v[196:199] offset:448
	ds_write_b128 v254, v[160:163] offset:896
	;; [unrolled: 1-line block ×6, first 2 shown]
	v_mul_u32_u24_sdwa v0, v252, v28 dst_sel:DWORD dst_unused:UNUSED_PAD src0_sel:WORD_0 src1_sel:DWORD
	v_add_f64 v[170:171], v[10:11], -v[8:9]
	v_add_f64 v[168:169], v[10:11], v[8:9]
	v_add_f64 v[8:9], v[8:9], -v[12:13]
	v_add_f64 v[186:187], v[172:173], v[18:19]
	v_mul_f64 v[190:191], v[174:175], s[20:21]
	v_add_f64 v[10:11], v[12:13], -v[10:11]
	v_add_nc_u32_e32 v0, v0, v250
	v_lshl_add_u32 v240, v0, 4, v204
	v_mul_f64 v[188:189], v[170:171], s[20:21]
	v_add_f64 v[184:185], v[168:169], v[12:13]
	v_mul_f64 v[168:169], v[22:23], s[8:9]
	v_mul_f64 v[170:171], v[26:27], s[8:9]
	v_add_f64 v[12:13], v[18:19], -v[16:17]
	v_fma_f64 v[172:173], v[8:9], s[14:15], -v[188:189]
	v_mul_f64 v[8:9], v[8:9], s[16:17]
	v_fma_f64 v[168:169], v[20:21], s[18:19], -v[168:169]
	v_fma_f64 v[170:171], v[24:25], s[18:19], -v[170:171]
	v_fma_f64 v[174:175], v[184:185], s[12:13], v[172:173]
	v_fma_f64 v[172:173], v[14:15], s[14:15], -v[190:191]
	v_add_f64 v[176:177], v[168:169], v[192:193]
	v_add_f64 v[178:179], v[170:171], v[194:195]
	v_mul_f64 v[14:15], v[14:15], s[16:17]
	v_fma_f64 v[8:9], v[10:11], s[22:23], v[8:9]
	v_fma_f64 v[172:173], v[186:187], s[12:13], v[172:173]
	v_add_f64 v[170:171], v[174:175], v[178:179]
	v_add_f64 v[174:175], v[178:179], -v[174:175]
	v_add_f64 v[178:179], v[229:230], -v[231:232]
	v_fma_f64 v[14:15], v[12:13], s[22:23], v[14:15]
	v_fma_f64 v[8:9], v[184:185], s[12:13], v[8:9]
	v_add_f64 v[168:169], v[176:177], -v[172:173]
	v_add_f64 v[172:173], v[172:173], v[176:177]
	v_add_f64 v[176:177], v[225:226], -v[227:228]
	v_mul_f64 v[18:19], v[178:179], s[24:25]
	v_fma_f64 v[14:15], v[186:187], s[12:13], v[14:15]
	v_mul_f64 v[16:17], v[176:177], s[24:25]
	v_fma_f64 v[24:25], v[24:25], s[26:27], -v[18:19]
	v_fma_f64 v[20:21], v[20:21], s[26:27], -v[16:17]
	v_add_f64 v[24:25], v[24:25], v[194:195]
	v_add_f64 v[20:21], v[20:21], v[192:193]
	v_add_f64 v[178:179], v[24:25], -v[8:9]
	v_add_f64 v[182:183], v[8:9], v[24:25]
	v_fma_f64 v[8:9], v[10:11], s[28:29], v[188:189]
	v_fma_f64 v[10:11], v[12:13], s[28:29], v[190:191]
	;; [unrolled: 1-line block ×3, first 2 shown]
	v_add_f64 v[176:177], v[14:15], v[20:21]
	v_add_f64 v[180:181], v[20:21], -v[14:15]
	v_fma_f64 v[14:15], v[26:27], s[8:9], v[18:19]
	v_fma_f64 v[8:9], v[184:185], s[12:13], v[8:9]
	;; [unrolled: 1-line block ×3, first 2 shown]
	v_add_f64 v[12:13], v[12:13], v[192:193]
	v_add_f64 v[14:15], v[14:15], v[194:195]
	;; [unrolled: 1-line block ×3, first 2 shown]
	v_add_f64 v[188:189], v[12:13], -v[10:11]
	v_add_f64 v[186:187], v[14:15], -v[8:9]
	v_add_f64 v[190:191], v[8:9], v[14:15]
	v_mad_u64_u32 v[8:9], null, 0x60, v241, s[10:11]
	ds_write_b128 v240, v[152:155]
	ds_write_b128 v240, v[184:187] offset:448
	ds_write_b128 v240, v[176:179] offset:896
	;; [unrolled: 1-line block ×6, first 2 shown]
	v_add_co_u32 v10, vcc_lo, 0x800, v8
	v_add_co_ci_u32_e32 v11, vcc_lo, 0, v9, vcc_lo
	s_waitcnt lgkmcnt(0)
	s_barrier
	buffer_gl0_inv
	global_load_dwordx4 v[160:163], v[10:11], off offset:1056
	v_add_co_u32 v12, vcc_lo, 0xc20, v8
	v_add_co_ci_u32_e32 v13, vcc_lo, 0, v9, vcc_lo
	ds_read_b128 v[0:3], v242 offset:3136
	ds_read_b128 v[4:7], v242 offset:4704
	s_clause 0x2
	global_load_dwordx4 v[152:155], v[12:13], off offset:48
	global_load_dwordx4 v[168:171], v[12:13], off offset:16
	;; [unrolled: 1-line block ×3, first 2 shown]
	s_waitcnt vmcnt(3) lgkmcnt(1)
	v_mul_f64 v[14:15], v[2:3], v[162:163]
	v_fma_f64 v[48:49], v[0:1], v[160:161], -v[14:15]
	v_mul_f64 v[0:1], v[0:1], v[162:163]
	v_fma_f64 v[52:53], v[2:3], v[160:161], v[0:1]
	ds_read_b128 v[0:3], v242 offset:6272
	ds_read_b128 v[196:199], v242 offset:7840
	s_waitcnt vmcnt(1) lgkmcnt(1)
	v_mul_f64 v[12:13], v[2:3], v[170:171]
	v_fma_f64 v[40:41], v[0:1], v[168:169], -v[12:13]
	v_mul_f64 v[0:1], v[0:1], v[170:171]
	v_fma_f64 v[44:45], v[2:3], v[168:169], v[0:1]
	ds_read_b128 v[0:3], v242 offset:9408
	ds_read_b128 v[200:203], v242 offset:10976
	;; [unrolled: 7-line block ×3, first 2 shown]
	s_waitcnt lgkmcnt(1)
	v_mul_f64 v[16:17], v[2:3], v[154:155]
	v_fma_f64 v[222:223], v[0:1], v[152:153], -v[16:17]
	v_mul_f64 v[0:1], v[0:1], v[154:155]
	v_fma_f64 v[224:225], v[2:3], v[152:153], v[0:1]
	v_add_co_u32 v0, vcc_lo, 0xc60, v8
	v_add_co_ci_u32_e32 v1, vcc_lo, 0, v9, vcc_lo
	s_clause 0x1
	global_load_dwordx4 v[172:175], v[10:11], off offset:1120
	global_load_dwordx4 v[180:183], v[0:1], off offset:16
	ds_read_b128 v[0:3], v242 offset:15680
	ds_read_b128 v[210:213], v242 offset:17248
	v_add_f64 v[28:29], v[220:221], v[224:225]
	s_waitcnt vmcnt(1) lgkmcnt(1)
	v_mul_f64 v[10:11], v[2:3], v[174:175]
	v_fma_f64 v[24:25], v[0:1], v[172:173], -v[10:11]
	v_mul_f64 v[0:1], v[0:1], v[174:175]
	v_fma_f64 v[226:227], v[2:3], v[172:173], v[0:1]
	ds_read_b128 v[0:3], v242 offset:18816
	ds_read_b128 v[214:217], v242 offset:20384
	s_waitcnt vmcnt(0) lgkmcnt(1)
	v_mul_f64 v[16:17], v[2:3], v[182:183]
	v_fma_f64 v[228:229], v[0:1], v[180:181], -v[16:17]
	v_mul_f64 v[0:1], v[0:1], v[182:183]
	v_add_f64 v[38:39], v[48:49], v[228:229]
	v_fma_f64 v[230:231], v[2:3], v[180:181], v[0:1]
	v_add_co_u32 v0, vcc_lo, 0x3000, v8
	v_add_co_ci_u32_e32 v1, vcc_lo, 0, v9, vcc_lo
	v_add_co_u32 v2, vcc_lo, 0x30e0, v8
	v_add_co_ci_u32_e32 v3, vcc_lo, 0, v9, vcc_lo
	s_clause 0x3
	global_load_dwordx4 v[192:195], v[0:1], off offset:224
	global_load_dwordx4 v[176:179], v[2:3], off offset:48
	;; [unrolled: 1-line block ×4, first 2 shown]
	s_waitcnt vmcnt(3)
	v_mul_f64 v[16:17], v[6:7], v[194:195]
	s_waitcnt vmcnt(1)
	v_mul_f64 v[2:3], v[198:199], v[190:191]
	v_fma_f64 v[232:233], v[4:5], v[192:193], -v[16:17]
	v_fma_f64 v[236:237], v[196:197], v[188:189], -v[2:3]
	v_mul_f64 v[2:3], v[196:197], v[190:191]
	v_mul_f64 v[4:5], v[4:5], v[194:195]
	v_fma_f64 v[238:239], v[198:199], v[188:189], v[2:3]
	s_waitcnt vmcnt(0)
	v_mul_f64 v[2:3], v[202:203], v[186:187]
	v_fma_f64 v[234:235], v[6:7], v[192:193], v[4:5]
	v_fma_f64 v[247:248], v[200:201], v[184:185], -v[2:3]
	v_mul_f64 v[2:3], v[200:201], v[186:187]
	v_fma_f64 v[204:205], v[202:203], v[184:185], v[2:3]
	v_mul_f64 v[2:3], v[208:209], v[178:179]
	v_fma_f64 v[56:57], v[206:207], v[176:177], -v[2:3]
	v_mul_f64 v[2:3], v[206:207], v[178:179]
	v_add_f64 v[206:207], v[40:41], v[24:25]
	v_add_f64 v[42:43], v[247:248], v[56:57]
	v_fma_f64 v[60:61], v[208:209], v[176:177], v[2:3]
	v_add_co_u32 v2, vcc_lo, 0x3120, v8
	v_add_co_ci_u32_e32 v3, vcc_lo, 0, v9, vcc_lo
	s_clause 0x1
	global_load_dwordx4 v[196:199], v[0:1], off offset:288
	global_load_dwordx4 v[200:203], v[2:3], off offset:16
	v_add_f64 v[50:51], v[204:205], v[60:61]
	s_waitcnt vmcnt(1)
	v_mul_f64 v[0:1], v[212:213], v[198:199]
	v_fma_f64 v[32:33], v[210:211], v[196:197], -v[0:1]
	v_mul_f64 v[0:1], v[210:211], v[198:199]
	v_add_f64 v[210:211], v[44:45], v[226:227]
	v_add_f64 v[10:11], v[236:237], v[32:33]
	v_fma_f64 v[36:37], v[212:213], v[196:197], v[0:1]
	s_waitcnt vmcnt(0) lgkmcnt(0)
	v_mul_f64 v[0:1], v[216:217], v[202:203]
	v_add_f64 v[8:9], v[238:239], v[36:37]
	v_fma_f64 v[34:35], v[214:215], v[200:201], -v[0:1]
	v_mul_f64 v[0:1], v[214:215], v[202:203]
	v_add_f64 v[214:215], v[218:219], v[222:223]
	v_add_f64 v[26:27], v[232:233], v[34:35]
	v_fma_f64 v[30:31], v[216:217], v[200:201], v[0:1]
	v_add_f64 v[0:1], v[206:207], v[38:39]
	v_add_f64 v[216:217], v[52:53], v[230:231]
	v_add_f64 v[54:55], v[214:215], -v[206:207]
	v_add_f64 v[20:21], v[10:11], v[26:27]
	v_add_f64 v[46:47], v[234:235], v[30:31]
	;; [unrolled: 1-line block ×7, first 2 shown]
	ds_read_b128 v[0:3], v242
	ds_read_b128 v[4:7], v242 offset:1568
	v_add_f64 v[12:13], v[50:51], v[20:21]
	s_waitcnt lgkmcnt(0)
	v_add_f64 v[20:21], v[4:5], v[14:15]
	v_add_f64 v[4:5], v[40:41], -v[24:25]
	v_add_f64 v[40:41], v[44:45], -v[226:227]
	;; [unrolled: 1-line block ×6, first 2 shown]
	v_add_f64 v[16:17], v[0:1], v[208:209]
	v_add_f64 v[18:19], v[2:3], v[212:213]
	;; [unrolled: 1-line block ×3, first 2 shown]
	v_add_f64 v[6:7], v[222:223], -v[218:219]
	v_add_f64 v[218:219], v[210:211], -v[216:217]
	;; [unrolled: 1-line block ×4, first 2 shown]
	v_add_f64 v[220:221], v[44:45], v[40:41]
	v_add_f64 v[40:41], v[40:41], -v[48:49]
	v_add_f64 v[28:29], v[216:217], -v[28:29]
	v_fma_f64 v[2:3], v[212:213], s[6:7], v[18:19]
	v_add_f64 v[206:207], v[6:7], v[4:5]
	v_add_f64 v[210:211], v[6:7], -v[4:5]
	v_add_f64 v[4:5], v[4:5], -v[24:25]
	v_mul_f64 v[224:225], v[224:225], s[20:21]
	v_add_f64 v[228:229], v[220:221], v[48:49]
	v_fma_f64 v[220:221], v[208:209], s[6:7], v[16:17]
	v_add_f64 v[6:7], v[24:25], -v[6:7]
	v_mul_f64 v[28:29], v[28:29], s[24:25]
	v_add_f64 v[226:227], v[206:207], v[24:25]
	v_mul_f64 v[206:207], v[54:55], s[8:9]
	v_mul_f64 v[230:231], v[210:211], s[20:21]
	;; [unrolled: 1-line block ×3, first 2 shown]
	v_fma_f64 v[208:209], v[40:41], s[14:15], -v[224:225]
	v_add_f64 v[24:25], v[48:49], -v[44:45]
	v_fma_f64 v[44:45], v[218:219], s[26:27], -v[28:29]
	v_fma_f64 v[206:207], v[52:53], s[18:19], -v[206:207]
	;; [unrolled: 1-line block ×4, first 2 shown]
	v_fma_f64 v[212:213], v[228:229], s[12:13], v[208:209]
	v_mul_f64 v[4:5], v[4:5], s[16:17]
	v_add_f64 v[44:45], v[44:45], v[2:3]
	v_add_f64 v[0:1], v[206:207], v[220:221]
	v_fma_f64 v[58:59], v[226:227], s[12:13], v[58:59]
	v_add_f64 v[62:63], v[210:211], v[2:3]
	v_fma_f64 v[4:5], v[6:7], s[22:23], v[4:5]
	v_add_f64 v[206:207], v[0:1], -v[212:213]
	v_add_f64 v[210:211], v[212:213], v[0:1]
	v_add_f64 v[0:1], v[38:39], -v[214:215]
	v_mul_f64 v[38:39], v[40:41], s[16:17]
	v_fma_f64 v[4:5], v[226:227], s[12:13], v[4:5]
	v_add_f64 v[208:209], v[58:59], v[62:63]
	v_add_f64 v[212:213], v[62:63], -v[58:59]
	v_fma_f64 v[58:59], v[12:13], s[6:7], v[22:23]
	v_mul_f64 v[0:1], v[0:1], s[24:25]
	v_fma_f64 v[38:39], v[24:25], s[22:23], v[38:39]
	v_add_f64 v[216:217], v[44:45], -v[4:5]
	v_fma_f64 v[40:41], v[52:53], s[26:27], -v[0:1]
	v_fma_f64 v[38:39], v[228:229], s[12:13], v[38:39]
	v_fma_f64 v[0:1], v[54:55], s[8:9], v[0:1]
	v_add_f64 v[40:41], v[40:41], v[220:221]
	v_add_f64 v[0:1], v[0:1], v[220:221]
	;; [unrolled: 1-line block ×3, first 2 shown]
	v_add_f64 v[38:39], v[40:41], -v[38:39]
	v_add_f64 v[40:41], v[4:5], v[44:45]
	v_fma_f64 v[4:5], v[6:7], s[28:29], v[230:231]
	v_fma_f64 v[6:7], v[24:25], s[28:29], v[224:225]
	;; [unrolled: 1-line block ×3, first 2 shown]
	v_add_f64 v[28:29], v[234:235], -v[30:31]
	v_add_f64 v[30:31], v[10:11], -v[26:27]
	v_fma_f64 v[4:5], v[226:227], s[12:13], v[4:5]
	v_fma_f64 v[6:7], v[228:229], s[12:13], v[6:7]
	v_add_f64 v[2:3], v[24:25], v[2:3]
	v_add_f64 v[24:25], v[60:61], -v[204:205]
	v_add_f64 v[222:223], v[6:7], v[0:1]
	v_add_f64 v[224:225], v[2:3], -v[4:5]
	v_add_f64 v[226:227], v[0:1], -v[6:7]
	v_add_f64 v[228:229], v[4:5], v[2:3]
	v_add_f64 v[0:1], v[236:237], -v[32:33]
	v_add_f64 v[2:3], v[56:57], -v[247:248]
	v_add_f64 v[6:7], v[238:239], -v[36:37]
	v_add_f64 v[4:5], v[232:233], -v[34:35]
	v_add_f64 v[32:33], v[42:43], -v[10:11]
	v_add_f64 v[10:11], v[8:9], -v[46:47]
	v_add_f64 v[34:35], v[50:51], -v[8:9]
	v_fma_f64 v[56:57], v[14:15], s[6:7], v[20:21]
	v_add_f64 v[8:9], v[2:3], v[0:1]
	v_add_f64 v[36:37], v[2:3], -v[0:1]
	v_add_f64 v[48:49], v[24:25], -v[6:7]
	;; [unrolled: 1-line block ×3, first 2 shown]
	v_add_f64 v[44:45], v[24:25], v[6:7]
	v_add_f64 v[6:7], v[6:7], -v[28:29]
	v_mul_f64 v[54:55], v[34:35], s[8:9]
	v_add_f64 v[2:3], v[4:5], -v[2:3]
	v_add_f64 v[52:53], v[8:9], v[4:5]
	v_mul_f64 v[36:37], v[36:37], s[20:21]
	v_mul_f64 v[48:49], v[48:49], s[20:21]
	;; [unrolled: 1-line block ×3, first 2 shown]
	v_add_f64 v[44:45], v[44:45], v[28:29]
	v_add_f64 v[4:5], v[28:29], -v[24:25]
	v_fma_f64 v[54:55], v[10:11], s[18:19], -v[54:55]
	s_mov_b32 s21, 0x3fe11646
	v_fma_f64 v[12:13], v[0:1], s[14:15], -v[36:37]
	v_fma_f64 v[14:15], v[6:7], s[14:15], -v[48:49]
	;; [unrolled: 1-line block ×3, first 2 shown]
	v_mul_f64 v[0:1], v[0:1], s[16:17]
	v_mul_f64 v[6:7], v[6:7], s[16:17]
	v_add_f64 v[54:55], v[54:55], v[58:59]
	v_fma_f64 v[12:13], v[52:53], s[12:13], v[12:13]
	v_fma_f64 v[14:15], v[44:45], s[12:13], v[14:15]
	v_add_f64 v[8:9], v[8:9], v[56:57]
	v_fma_f64 v[0:1], v[2:3], s[22:23], v[0:1]
	v_fma_f64 v[6:7], v[4:5], s[22:23], v[6:7]
	v_add_f64 v[232:233], v[12:13], v[54:55]
	v_add_f64 v[236:237], v[54:55], -v[12:13]
	v_add_f64 v[230:231], v[8:9], -v[14:15]
	v_add_f64 v[234:235], v[14:15], v[8:9]
	v_add_f64 v[8:9], v[26:27], -v[42:43]
	v_add_f64 v[12:13], v[46:47], -v[50:51]
	v_fma_f64 v[0:1], v[52:53], s[12:13], v[0:1]
	v_fma_f64 v[6:7], v[44:45], s[12:13], v[6:7]
	v_mul_f64 v[24:25], v[8:9], s[24:25]
	v_mul_f64 v[26:27], v[12:13], s[24:25]
	v_fma_f64 v[8:9], v[30:31], s[26:27], -v[24:25]
	v_fma_f64 v[10:11], v[10:11], s[26:27], -v[26:27]
	v_add_f64 v[8:9], v[8:9], v[56:57]
	v_add_f64 v[10:11], v[10:11], v[58:59]
	;; [unrolled: 1-line block ×3, first 2 shown]
	v_add_f64 v[14:15], v[10:11], -v[0:1]
	v_add_f64 v[8:9], v[8:9], -v[6:7]
	v_add_f64 v[10:11], v[0:1], v[10:11]
	v_fma_f64 v[0:1], v[2:3], s[28:29], v[36:37]
	v_fma_f64 v[2:3], v[4:5], s[28:29], v[48:49]
	;; [unrolled: 1-line block ×6, first 2 shown]
	v_add_f64 v[4:5], v[4:5], v[56:57]
	v_add_f64 v[6:7], v[6:7], v[58:59]
	s_mov_b32 s13, 0xbfdc38aa
	v_add_f64 v[0:1], v[26:27], v[4:5]
	v_add_f64 v[2:3], v[6:7], -v[24:25]
	v_add_f64 v[4:5], v[4:5], -v[26:27]
	v_add_f64 v[6:7], v[24:25], v[6:7]
	ds_write_b128 v242, v[16:19]
	ds_write_b128 v242, v[20:23] offset:1568
	ds_write_b128 v242, v[222:225] offset:3136
	;; [unrolled: 1-line block ×13, first 2 shown]
	v_add_co_u32 v0, vcc_lo, 0x5000, v245
	v_add_co_ci_u32_e32 v1, vcc_lo, 0, v246, vcc_lo
	v_add_co_u32 v4, vcc_lo, 0x55c0, v245
	v_add_co_ci_u32_e32 v5, vcc_lo, 0, v246, vcc_lo
	s_waitcnt lgkmcnt(0)
	s_barrier
	buffer_gl0_inv
	s_clause 0x1
	global_load_dwordx4 v[0:3], v[0:1], off offset:1472
	global_load_dwordx4 v[4:7], v[4:5], off offset:1568
	ds_read_b128 v[8:11], v242
	ds_read_b128 v[12:15], v242 offset:1568
	s_waitcnt vmcnt(1) lgkmcnt(1)
	v_mul_f64 v[16:17], v[10:11], v[2:3]
	v_mul_f64 v[2:3], v[8:9], v[2:3]
	v_fma_f64 v[24:25], v[8:9], v[0:1], -v[16:17]
	v_add_co_u32 v8, vcc_lo, 0x8000, v245
	v_add_co_ci_u32_e32 v9, vcc_lo, 0, v246, vcc_lo
	v_fma_f64 v[26:27], v[10:11], v[0:1], v[2:3]
	s_clause 0x1
	global_load_dwordx4 v[0:3], v[8:9], off offset:160
	global_load_dwordx4 v[16:19], v[8:9], off offset:1728
	ds_read_b128 v[20:23], v242 offset:10976
	ds_read_b128 v[206:209], v242 offset:9408
	s_waitcnt vmcnt(1) lgkmcnt(1)
	v_mul_f64 v[8:9], v[22:23], v[2:3]
	v_mul_f64 v[2:3], v[20:21], v[2:3]
	v_fma_f64 v[20:21], v[20:21], v[0:1], -v[8:9]
	v_fma_f64 v[22:23], v[22:23], v[0:1], v[2:3]
	v_mul_f64 v[0:1], v[14:15], v[6:7]
	v_mul_f64 v[2:3], v[12:13], v[6:7]
	v_fma_f64 v[8:9], v[12:13], v[4:5], -v[0:1]
	v_fma_f64 v[10:11], v[14:15], v[4:5], v[2:3]
	ds_read_b128 v[4:7], v242 offset:12544
	ds_read_b128 v[12:15], v242 offset:14112
	s_waitcnt vmcnt(0) lgkmcnt(1)
	v_mul_f64 v[0:1], v[6:7], v[18:19]
	v_mul_f64 v[2:3], v[4:5], v[18:19]
	v_fma_f64 v[4:5], v[4:5], v[16:17], -v[0:1]
	v_add_co_u32 v0, vcc_lo, 0x6000, v245
	v_add_co_ci_u32_e32 v1, vcc_lo, 0, v246, vcc_lo
	v_fma_f64 v[6:7], v[6:7], v[16:17], v[2:3]
	v_add_co_u32 v2, vcc_lo, 0x8800, v245
	v_add_co_ci_u32_e32 v3, vcc_lo, 0, v246, vcc_lo
	s_clause 0x1
	global_load_dwordx4 v[16:19], v[0:1], off offset:512
	global_load_dwordx4 v[210:213], v[2:3], off offset:1248
	ds_read_b128 v[214:217], v242 offset:3136
	ds_read_b128 v[218:221], v242 offset:4704
	s_waitcnt vmcnt(1) lgkmcnt(1)
	v_mul_f64 v[0:1], v[216:217], v[18:19]
	v_mul_f64 v[2:3], v[214:215], v[18:19]
	v_fma_f64 v[214:215], v[214:215], v[16:17], -v[0:1]
	s_waitcnt vmcnt(0)
	v_mul_f64 v[0:1], v[14:15], v[212:213]
	v_fma_f64 v[216:217], v[216:217], v[16:17], v[2:3]
	v_mul_f64 v[2:3], v[12:13], v[212:213]
	v_fma_f64 v[12:13], v[12:13], v[210:211], -v[0:1]
	v_add_co_u32 v0, vcc_lo, 0x6800, v245
	v_add_co_ci_u32_e32 v1, vcc_lo, 0, v246, vcc_lo
	v_fma_f64 v[14:15], v[14:15], v[210:211], v[2:3]
	s_clause 0x1
	global_load_dwordx4 v[16:19], v[0:1], off offset:32
	global_load_dwordx4 v[210:213], v[0:1], off offset:1600
	s_waitcnt vmcnt(1) lgkmcnt(0)
	v_mul_f64 v[0:1], v[220:221], v[18:19]
	v_mul_f64 v[2:3], v[218:219], v[18:19]
	v_fma_f64 v[218:219], v[218:219], v[16:17], -v[0:1]
	v_add_co_u32 v0, vcc_lo, 0x9000, v245
	v_add_co_ci_u32_e32 v1, vcc_lo, 0, v246, vcc_lo
	v_fma_f64 v[220:221], v[220:221], v[16:17], v[2:3]
	v_add_co_u32 v2, vcc_lo, 0x9800, v245
	v_add_co_ci_u32_e32 v3, vcc_lo, 0, v246, vcc_lo
	s_clause 0x1
	global_load_dwordx4 v[16:19], v[0:1], off offset:768
	global_load_dwordx4 v[222:225], v[2:3], off offset:288
	ds_read_b128 v[226:229], v242 offset:15680
	ds_read_b128 v[230:233], v242 offset:17248
	s_waitcnt vmcnt(1) lgkmcnt(1)
	v_mul_f64 v[0:1], v[228:229], v[18:19]
	v_mul_f64 v[18:19], v[226:227], v[18:19]
	v_fma_f64 v[226:227], v[226:227], v[16:17], -v[0:1]
	v_fma_f64 v[228:229], v[228:229], v[16:17], v[18:19]
	ds_read_b128 v[16:19], v242 offset:6272
	ds_read_b128 v[234:237], v242 offset:7840
	s_waitcnt lgkmcnt(1)
	v_mul_f64 v[0:1], v[18:19], v[212:213]
	v_mul_f64 v[28:29], v[16:17], v[212:213]
	v_fma_f64 v[16:17], v[16:17], v[210:211], -v[0:1]
	s_waitcnt vmcnt(0)
	v_mul_f64 v[0:1], v[232:233], v[224:225]
	v_fma_f64 v[18:19], v[18:19], v[210:211], v[28:29]
	v_mul_f64 v[28:29], v[230:231], v[224:225]
	v_fma_f64 v[210:211], v[230:231], v[222:223], -v[0:1]
	v_add_co_u32 v0, vcc_lo, 0x7000, v245
	v_add_co_ci_u32_e32 v1, vcc_lo, 0, v246, vcc_lo
	v_fma_f64 v[212:213], v[232:233], v[222:223], v[28:29]
	s_clause 0x1
	global_load_dwordx4 v[222:225], v[0:1], off offset:1120
	global_load_dwordx4 v[230:233], v[2:3], off offset:1856
	s_waitcnt vmcnt(1) lgkmcnt(0)
	v_mul_f64 v[0:1], v[236:237], v[224:225]
	v_mul_f64 v[2:3], v[234:235], v[224:225]
	v_fma_f64 v[234:235], v[234:235], v[222:223], -v[0:1]
	v_fma_f64 v[236:237], v[236:237], v[222:223], v[2:3]
	ds_read_b128 v[222:225], v242 offset:18816
	ds_read_b128 v[0:3], v242 offset:20384
	s_waitcnt vmcnt(0) lgkmcnt(1)
	v_mul_f64 v[28:29], v[224:225], v[232:233]
	v_mul_f64 v[30:31], v[222:223], v[232:233]
	v_fma_f64 v[222:223], v[222:223], v[230:231], -v[28:29]
	v_add_co_u32 v28, vcc_lo, 0x7800, v245
	v_add_co_ci_u32_e32 v29, vcc_lo, 0, v246, vcc_lo
	v_fma_f64 v[224:225], v[224:225], v[230:231], v[30:31]
	v_add_co_u32 v30, vcc_lo, 0xa000, v245
	v_add_co_ci_u32_e32 v31, vcc_lo, 0, v246, vcc_lo
	s_clause 0x1
	global_load_dwordx4 v[230:233], v[28:29], off offset:640
	global_load_dwordx4 v[245:248], v[30:31], off offset:1376
	s_waitcnt vmcnt(1)
	v_mul_f64 v[28:29], v[208:209], v[232:233]
	v_mul_f64 v[30:31], v[206:207], v[232:233]
	v_fma_f64 v[206:207], v[206:207], v[230:231], -v[28:29]
	v_fma_f64 v[208:209], v[208:209], v[230:231], v[30:31]
	s_waitcnt vmcnt(0) lgkmcnt(0)
	v_mul_f64 v[28:29], v[2:3], v[247:248]
	v_mul_f64 v[30:31], v[0:1], v[247:248]
	v_fma_f64 v[0:1], v[0:1], v[245:246], -v[28:29]
	v_fma_f64 v[2:3], v[2:3], v[245:246], v[30:31]
	ds_write_b128 v242, v[24:27]
	ds_write_b128 v242, v[20:23] offset:10976
	ds_write_b128 v242, v[8:11] offset:1568
	;; [unrolled: 1-line block ×13, first 2 shown]
	s_waitcnt lgkmcnt(0)
	s_barrier
	buffer_gl0_inv
	ds_read_b128 v[0:3], v242 offset:10976
	ds_read_b128 v[4:7], v242
	ds_read_b128 v[8:11], v242 offset:1568
	ds_read_b128 v[12:15], v242 offset:9408
	;; [unrolled: 1-line block ×12, first 2 shown]
	s_waitcnt lgkmcnt(0)
	s_barrier
	buffer_gl0_inv
	buffer_load_dword v28, off, s[36:39], 0 offset:288 ; 4-byte Folded Reload
	v_add_f64 v[0:1], v[4:5], -v[0:1]
	v_add_f64 v[2:3], v[6:7], -v[2:3]
	v_fma_f64 v[4:5], v[4:5], 2.0, -v[0:1]
	v_fma_f64 v[6:7], v[6:7], 2.0, -v[2:3]
	s_waitcnt vmcnt(0)
	ds_write_b128 v28, v[0:3] offset:16
	ds_write_b128 v28, v[4:7]
	v_add_f64 v[0:1], v[8:9], -v[16:17]
	v_add_f64 v[2:3], v[10:11], -v[18:19]
	v_fma_f64 v[4:5], v[8:9], 2.0, -v[0:1]
	buffer_load_dword v8, off, s[36:39], 0 offset:284 ; 4-byte Folded Reload
	v_fma_f64 v[6:7], v[10:11], 2.0, -v[2:3]
	s_waitcnt vmcnt(0)
	ds_write_b128 v8, v[4:7]
	ds_write_b128 v8, v[0:3] offset:16
	buffer_load_dword v8, off, s[36:39], 0 offset:280 ; 4-byte Folded Reload
	v_add_f64 v[0:1], v[24:25], -v[20:21]
	v_add_f64 v[2:3], v[26:27], -v[22:23]
	v_fma_f64 v[4:5], v[24:25], 2.0, -v[0:1]
	v_fma_f64 v[6:7], v[26:27], 2.0, -v[2:3]
	s_waitcnt vmcnt(0)
	ds_write_b128 v8, v[4:7]
	ds_write_b128 v8, v[0:3] offset:16
	buffer_load_dword v8, off, s[36:39], 0 offset:276 ; 4-byte Folded Reload
	v_add_f64 v[0:1], v[206:207], -v[210:211]
	v_add_f64 v[2:3], v[208:209], -v[212:213]
	v_fma_f64 v[4:5], v[206:207], 2.0, -v[0:1]
	v_fma_f64 v[6:7], v[208:209], 2.0, -v[2:3]
	s_waitcnt vmcnt(0)
	ds_write_b128 v8, v[4:7]
	ds_write_b128 v8, v[0:3] offset:16
	buffer_load_dword v8, off, s[36:39], 0 offset:272 ; 4-byte Folded Reload
	v_add_f64 v[0:1], v[218:219], -v[214:215]
	v_add_f64 v[2:3], v[220:221], -v[216:217]
	v_fma_f64 v[4:5], v[218:219], 2.0, -v[0:1]
	v_fma_f64 v[6:7], v[220:221], 2.0, -v[2:3]
	s_waitcnt vmcnt(0)
	ds_write_b128 v8, v[4:7]
	ds_write_b128 v8, v[0:3] offset:16
	buffer_load_dword v8, off, s[36:39], 0 offset:268 ; 4-byte Folded Reload
	v_add_f64 v[0:1], v[222:223], -v[226:227]
	v_add_f64 v[2:3], v[224:225], -v[228:229]
	v_fma_f64 v[4:5], v[222:223], 2.0, -v[0:1]
	v_fma_f64 v[6:7], v[224:225], 2.0, -v[2:3]
	s_waitcnt vmcnt(0)
	ds_write_b128 v8, v[4:7]
	ds_write_b128 v8, v[0:3] offset:16
	buffer_load_dword v8, off, s[36:39], 0 offset:264 ; 4-byte Folded Reload
	v_add_f64 v[0:1], v[12:13], -v[230:231]
	v_add_f64 v[2:3], v[14:15], -v[232:233]
	v_fma_f64 v[4:5], v[12:13], 2.0, -v[0:1]
	v_fma_f64 v[6:7], v[14:15], 2.0, -v[2:3]
	s_waitcnt vmcnt(0)
	ds_write_b128 v8, v[4:7]
	ds_write_b128 v8, v[0:3] offset:16
	s_waitcnt lgkmcnt(0)
	s_barrier
	buffer_gl0_inv
	ds_read_b128 v[0:3], v242 offset:10976
	ds_read_b128 v[4:7], v242 offset:9408
	s_waitcnt lgkmcnt(1)
	v_mul_f64 v[8:9], v[158:159], v[2:3]
	v_fma_f64 v[12:13], v[156:157], v[0:1], v[8:9]
	v_mul_f64 v[0:1], v[158:159], v[0:1]
	v_fma_f64 v[14:15], v[156:157], v[2:3], -v[0:1]
	ds_read_b128 v[0:3], v242 offset:12544
	ds_read_b128 v[8:11], v242 offset:14112
	s_waitcnt lgkmcnt(1)
	v_mul_f64 v[16:17], v[158:159], v[2:3]
	v_fma_f64 v[28:29], v[156:157], v[0:1], v[16:17]
	v_mul_f64 v[0:1], v[158:159], v[0:1]
	v_fma_f64 v[30:31], v[156:157], v[2:3], -v[0:1]
	s_waitcnt lgkmcnt(0)
	v_mul_f64 v[0:1], v[158:159], v[10:11]
	v_fma_f64 v[32:33], v[156:157], v[8:9], v[0:1]
	v_mul_f64 v[0:1], v[158:159], v[8:9]
	v_fma_f64 v[34:35], v[156:157], v[10:11], -v[0:1]
	ds_read_b128 v[0:3], v242 offset:15680
	ds_read_b128 v[8:11], v242 offset:17248
	s_waitcnt lgkmcnt(1)
	v_mul_f64 v[16:17], v[158:159], v[2:3]
	v_fma_f64 v[36:37], v[156:157], v[0:1], v[16:17]
	v_mul_f64 v[0:1], v[158:159], v[0:1]
	v_fma_f64 v[38:39], v[156:157], v[2:3], -v[0:1]
	;; [unrolled: 12-line block ×3, first 2 shown]
	s_waitcnt lgkmcnt(0)
	v_mul_f64 v[0:1], v[158:159], v[10:11]
	v_fma_f64 v[48:49], v[156:157], v[8:9], v[0:1]
	v_mul_f64 v[0:1], v[158:159], v[8:9]
	v_fma_f64 v[50:51], v[156:157], v[10:11], -v[0:1]
	ds_read_b128 v[0:3], v242
	ds_read_b128 v[8:11], v242 offset:1568
	ds_read_b128 v[16:19], v242 offset:3136
	;; [unrolled: 1-line block ×5, first 2 shown]
	s_waitcnt lgkmcnt(0)
	s_barrier
	buffer_gl0_inv
	v_add_f64 v[12:13], v[0:1], -v[12:13]
	v_add_f64 v[14:15], v[2:3], -v[14:15]
	v_fma_f64 v[0:1], v[0:1], 2.0, -v[12:13]
	v_fma_f64 v[2:3], v[2:3], 2.0, -v[14:15]
	ds_write_b128 v249, v[12:15] offset:32
	ds_write_b128 v249, v[0:3]
	v_add_f64 v[0:1], v[8:9], -v[28:29]
	v_add_f64 v[2:3], v[10:11], -v[30:31]
	v_fma_f64 v[8:9], v[8:9], 2.0, -v[0:1]
	v_fma_f64 v[10:11], v[10:11], 2.0, -v[2:3]
	ds_write_b128 v251, v[8:11]
	ds_write_b128 v251, v[0:3] offset:32
	v_add_f64 v[0:1], v[16:17], -v[32:33]
	v_add_f64 v[2:3], v[18:19], -v[34:35]
	v_fma_f64 v[8:9], v[16:17], 2.0, -v[0:1]
	v_fma_f64 v[10:11], v[18:19], 2.0, -v[2:3]
	ds_write_b128 v253, v[8:11]
	ds_write_b128 v253, v[0:3] offset:32
	;; [unrolled: 6-line block ×3, first 2 shown]
	buffer_load_dword v12, off, s[36:39], 0 offset:300 ; 4-byte Folded Reload
	v_add_f64 v[0:1], v[24:25], -v[40:41]
	v_add_f64 v[2:3], v[26:27], -v[42:43]
	v_fma_f64 v[8:9], v[24:25], 2.0, -v[0:1]
	v_fma_f64 v[10:11], v[26:27], 2.0, -v[2:3]
	s_waitcnt vmcnt(0)
	ds_write_b128 v12, v[8:11]
	ds_write_b128 v12, v[0:3] offset:32
	buffer_load_dword v12, off, s[36:39], 0 offset:296 ; 4-byte Folded Reload
	v_add_f64 v[0:1], v[156:157], -v[44:45]
	v_add_f64 v[2:3], v[158:159], -v[46:47]
	v_fma_f64 v[8:9], v[156:157], 2.0, -v[0:1]
	v_fma_f64 v[10:11], v[158:159], 2.0, -v[2:3]
	s_waitcnt vmcnt(0)
	ds_write_b128 v12, v[8:11]
	ds_write_b128 v12, v[0:3] offset:32
	buffer_load_dword v8, off, s[36:39], 0 offset:292 ; 4-byte Folded Reload
	v_add_f64 v[0:1], v[4:5], -v[48:49]
	v_add_f64 v[2:3], v[6:7], -v[50:51]
	v_fma_f64 v[4:5], v[4:5], 2.0, -v[0:1]
	v_fma_f64 v[6:7], v[6:7], 2.0, -v[2:3]
	s_waitcnt vmcnt(0)
	ds_write_b128 v8, v[4:7]
	ds_write_b128 v8, v[0:3] offset:32
	s_waitcnt lgkmcnt(0)
	s_barrier
	buffer_gl0_inv
	ds_read_b128 v[156:159], v242 offset:3136
	ds_read_b128 v[0:3], v242 offset:4704
	s_clause 0x3
	buffer_load_dword v6, off, s[36:39], 0 offset:232
	buffer_load_dword v7, off, s[36:39], 0 offset:236
	;; [unrolled: 1-line block ×4, first 2 shown]
	s_waitcnt vmcnt(0) lgkmcnt(1)
	v_mul_f64 v[4:5], v[8:9], v[158:159]
	v_fma_f64 v[28:29], v[6:7], v[156:157], v[4:5]
	v_mul_f64 v[4:5], v[8:9], v[156:157]
	v_fma_f64 v[30:31], v[6:7], v[158:159], -v[4:5]
	ds_read_b128 v[4:7], v242 offset:6272
	ds_read_b128 v[8:11], v242 offset:7840
	s_waitcnt lgkmcnt(1)
	v_mul_f64 v[12:13], v[74:75], v[6:7]
	v_fma_f64 v[32:33], v[72:73], v[4:5], v[12:13]
	v_mul_f64 v[4:5], v[74:75], v[4:5]
	v_fma_f64 v[34:35], v[72:73], v[6:7], -v[4:5]
	ds_read_b128 v[4:7], v242 offset:9408
	ds_read_b128 v[12:15], v242 offset:10976
	s_waitcnt lgkmcnt(1)
	;; [unrolled: 7-line block ×5, first 2 shown]
	v_mul_f64 v[48:49], v[66:67], v[6:7]
	v_fma_f64 v[48:49], v[64:65], v[4:5], v[48:49]
	v_mul_f64 v[4:5], v[66:67], v[4:5]
	v_fma_f64 v[50:51], v[64:65], v[6:7], -v[4:5]
	v_mul_f64 v[4:5], v[98:99], v[2:3]
	v_fma_f64 v[52:53], v[96:97], v[0:1], v[4:5]
	v_mul_f64 v[0:1], v[98:99], v[0:1]
	v_fma_f64 v[54:55], v[96:97], v[2:3], -v[0:1]
	v_mul_f64 v[0:1], v[86:87], v[10:11]
	v_fma_f64 v[60:61], v[84:85], v[8:9], v[0:1]
	v_mul_f64 v[0:1], v[86:87], v[8:9]
	v_add_f64 v[8:9], v[32:33], v[44:45]
	v_fma_f64 v[62:63], v[84:85], v[10:11], -v[0:1]
	s_waitcnt lgkmcnt(0)
	v_mul_f64 v[0:1], v[90:91], v[26:27]
	v_fma_f64 v[64:65], v[88:89], v[24:25], v[0:1]
	v_mul_f64 v[0:1], v[90:91], v[24:25]
	v_add_f64 v[24:25], v[32:33], -v[44:45]
	v_add_f64 v[32:33], v[34:35], -v[46:47]
	v_fma_f64 v[66:67], v[88:89], v[26:27], -v[0:1]
	v_mul_f64 v[0:1], v[82:83], v[22:23]
	v_add_f64 v[26:27], v[40:41], -v[36:37]
	v_fma_f64 v[68:69], v[80:81], v[20:21], v[0:1]
	v_mul_f64 v[0:1], v[82:83], v[20:21]
	v_add_f64 v[20:21], v[30:31], v[50:51]
	v_add_f64 v[30:31], v[30:31], -v[50:51]
	v_fma_f64 v[70:71], v[80:81], v[22:23], -v[0:1]
	v_mul_f64 v[0:1], v[110:111], v[14:15]
	v_add_f64 v[22:23], v[38:39], v[42:43]
	v_fma_f64 v[72:73], v[108:109], v[12:13], v[0:1]
	v_mul_f64 v[0:1], v[110:111], v[12:13]
	v_add_f64 v[12:13], v[34:35], v[46:47]
	v_add_f64 v[34:35], v[42:43], -v[38:39]
	v_fma_f64 v[74:75], v[108:109], v[14:15], -v[0:1]
	v_mul_f64 v[0:1], v[102:103], v[18:19]
	v_add_f64 v[42:43], v[22:23], -v[12:13]
	v_add_f64 v[44:45], v[34:35], v[32:33]
	v_add_f64 v[46:47], v[34:35], -v[32:33]
	v_add_f64 v[32:33], v[32:33], -v[30:31]
	v_fma_f64 v[76:77], v[100:101], v[16:17], v[0:1]
	v_mul_f64 v[0:1], v[102:103], v[16:17]
	v_add_f64 v[16:17], v[28:29], v[48:49]
	v_add_f64 v[28:29], v[28:29], -v[48:49]
	v_add_f64 v[44:45], v[44:45], v[30:31]
	v_mul_f64 v[46:47], v[46:47], s[20:21]
	v_fma_f64 v[78:79], v[100:101], v[18:19], -v[0:1]
	v_add_f64 v[18:19], v[36:37], v[40:41]
	v_add_f64 v[0:1], v[8:9], v[16:17]
	v_add_f64 v[40:41], v[12:13], -v[20:21]
	v_add_f64 v[36:37], v[8:9], -v[16:17]
	;; [unrolled: 1-line block ×3, first 2 shown]
	v_add_f64 v[10:11], v[18:19], v[0:1]
	v_add_f64 v[0:1], v[12:13], v[20:21]
	v_add_f64 v[12:13], v[26:27], -v[24:25]
	v_add_f64 v[8:9], v[26:27], v[24:25]
	v_add_f64 v[24:25], v[24:25], -v[28:29]
	v_add_f64 v[16:17], v[16:17], -v[18:19]
	;; [unrolled: 1-line block ×4, first 2 shown]
	v_add_f64 v[14:15], v[22:23], v[0:1]
	ds_read_b128 v[0:3], v242
	ds_read_b128 v[4:7], v242 offset:1568
	v_mul_f64 v[50:51], v[12:13], s[20:21]
	v_add_f64 v[48:49], v[8:9], v[28:29]
	v_add_f64 v[28:29], v[30:31], -v[34:35]
	v_mul_f64 v[20:21], v[24:25], s[14:15]
	v_mul_f64 v[22:23], v[32:33], s[14:15]
	;; [unrolled: 1-line block ×5, first 2 shown]
	s_waitcnt lgkmcnt(0)
	s_barrier
	buffer_gl0_inv
	v_add_f64 v[0:1], v[0:1], v[10:11]
	v_add_f64 v[2:3], v[2:3], v[14:15]
	v_fma_f64 v[18:19], v[28:29], s[28:29], v[22:23]
	v_fma_f64 v[22:23], v[40:41], s[26:27], -v[30:31]
	v_fma_f64 v[28:29], v[28:29], s[22:23], v[46:47]
	v_fma_f64 v[30:31], v[42:43], s[8:9], v[30:31]
	v_fma_f64 v[8:9], v[36:37], s[18:19], -v[8:9]
	v_fma_f64 v[12:13], v[40:41], s[18:19], -v[12:13]
	v_fma_f64 v[56:57], v[10:11], s[6:7], v[0:1]
	v_fma_f64 v[10:11], v[24:25], s[16:17], -v[50:51]
	v_mul_f64 v[24:25], v[16:17], s[24:25]
	v_fma_f64 v[58:59], v[14:15], s[6:7], v[2:3]
	v_fma_f64 v[16:17], v[26:27], s[28:29], v[20:21]
	;; [unrolled: 1-line block ×5, first 2 shown]
	v_add_f64 v[82:83], v[8:9], v[56:57]
	v_fma_f64 v[14:15], v[48:49], s[12:13], v[10:11]
	v_fma_f64 v[20:21], v[36:37], s[26:27], -v[24:25]
	v_fma_f64 v[10:11], v[32:33], s[16:17], -v[46:47]
	v_fma_f64 v[32:33], v[48:49], s[12:13], v[16:17]
	v_add_f64 v[22:23], v[22:23], v[58:59]
	v_fma_f64 v[24:25], v[38:39], s[8:9], v[24:25]
	v_add_f64 v[30:31], v[30:31], v[58:59]
	v_add_f64 v[84:85], v[12:13], v[58:59]
	;; [unrolled: 1-line block ×3, first 2 shown]
	v_fma_f64 v[80:81], v[44:45], s[12:13], v[10:11]
	v_add_f64 v[18:19], v[22:23], -v[32:33]
	v_add_f64 v[22:23], v[32:33], v[22:23]
	v_fma_f64 v[32:33], v[48:49], s[12:13], v[26:27]
	v_add_f64 v[10:11], v[14:15], v[84:85]
	v_add_f64 v[14:15], v[84:85], -v[14:15]
	v_add_f64 v[16:17], v[34:35], v[20:21]
	v_add_f64 v[20:21], v[20:21], -v[34:35]
	;; [unrolled: 2-line block ×6, first 2 shown]
	ds_write_b128 v243, v[0:3]
	ds_write_b128 v243, v[24:27] offset:64
	ds_write_b128 v243, v[16:19] offset:128
	;; [unrolled: 1-line block ×6, first 2 shown]
	v_add_f64 v[12:13], v[52:53], v[64:65]
	v_add_f64 v[8:9], v[60:61], v[68:69]
	;; [unrolled: 1-line block ×6, first 2 shown]
	v_add_f64 v[24:25], v[76:77], -v[72:73]
	v_add_f64 v[26:27], v[52:53], -v[64:65]
	;; [unrolled: 1-line block ×3, first 2 shown]
	v_add_f64 v[0:1], v[8:9], v[12:13]
	v_add_f64 v[32:33], v[8:9], -v[12:13]
	v_add_f64 v[34:35], v[14:15], -v[8:9]
	;; [unrolled: 1-line block ×5, first 2 shown]
	v_add_f64 v[10:11], v[14:15], v[0:1]
	v_add_f64 v[0:1], v[18:19], v[16:17]
	v_add_f64 v[14:15], v[16:17], -v[20:21]
	v_add_f64 v[22:23], v[20:21], v[0:1]
	v_add_f64 v[0:1], v[4:5], v[10:11]
	v_add_f64 v[4:5], v[60:61], -v[68:69]
	v_add_f64 v[20:21], v[26:27], -v[24:25]
	v_add_f64 v[2:3], v[6:7], v[22:23]
	v_add_f64 v[6:7], v[62:63], -v[70:71]
	v_add_f64 v[18:19], v[24:25], -v[4:5]
	v_add_f64 v[8:9], v[24:25], v[4:5]
	v_add_f64 v[40:41], v[4:5], -v[26:27]
	v_fma_f64 v[52:53], v[10:11], s[6:7], v[0:1]
	v_add_f64 v[24:25], v[30:31], -v[28:29]
	v_fma_f64 v[22:23], v[22:23], s[6:7], v[2:3]
	v_add_f64 v[4:5], v[28:29], v[6:7]
	v_add_f64 v[42:43], v[28:29], -v[6:7]
	v_mul_f64 v[50:51], v[18:19], s[20:21]
	v_add_f64 v[44:45], v[6:7], -v[30:31]
	v_add_f64 v[46:47], v[8:9], v[26:27]
	v_mul_f64 v[16:17], v[40:41], s[14:15]
	v_mul_f64 v[28:29], v[14:15], s[24:25]
	;; [unrolled: 1-line block ×4, first 2 shown]
	v_add_f64 v[48:49], v[4:5], v[30:31]
	v_mul_f64 v[42:43], v[42:43], s[20:21]
	v_mul_f64 v[4:5], v[34:35], s[8:9]
	v_fma_f64 v[8:9], v[40:41], s[16:17], -v[50:51]
	v_fma_f64 v[12:13], v[20:21], s[28:29], v[16:17]
	v_fma_f64 v[20:21], v[20:21], s[22:23], v[50:51]
	v_fma_f64 v[16:17], v[32:33], s[26:27], -v[26:27]
	v_fma_f64 v[26:27], v[34:35], s[8:9], v[26:27]
	v_fma_f64 v[6:7], v[36:37], s[18:19], -v[6:7]
	v_fma_f64 v[4:5], v[32:33], s[18:19], -v[4:5]
	v_fma_f64 v[10:11], v[46:47], s[12:13], v[8:9]
	v_fma_f64 v[8:9], v[44:45], s[16:17], -v[42:43]
	v_fma_f64 v[30:31], v[46:47], s[12:13], v[12:13]
	v_add_f64 v[16:17], v[16:17], v[52:53]
	v_add_f64 v[26:27], v[26:27], v[52:53]
	;; [unrolled: 1-line block ×4, first 2 shown]
	v_fma_f64 v[8:9], v[48:49], s[12:13], v[8:9]
	v_add_f64 v[6:7], v[10:11], v[54:55]
	v_add_f64 v[10:11], v[54:55], -v[10:11]
	v_add_f64 v[4:5], v[18:19], -v[8:9]
	v_add_f64 v[8:9], v[8:9], v[18:19]
	v_mul_f64 v[18:19], v[44:45], s[14:15]
	v_fma_f64 v[14:15], v[24:25], s[28:29], v[18:19]
	v_fma_f64 v[18:19], v[36:37], s[26:27], -v[28:29]
	v_fma_f64 v[24:25], v[24:25], s[22:23], v[42:43]
	v_fma_f64 v[28:29], v[38:39], s[8:9], v[28:29]
	;; [unrolled: 1-line block ×3, first 2 shown]
	v_add_f64 v[18:19], v[18:19], v[22:23]
	v_fma_f64 v[24:25], v[48:49], s[12:13], v[24:25]
	v_add_f64 v[28:29], v[28:29], v[22:23]
	v_add_f64 v[12:13], v[32:33], v[16:17]
	v_add_f64 v[14:15], v[18:19], -v[30:31]
	v_add_f64 v[18:19], v[30:31], v[18:19]
	v_fma_f64 v[30:31], v[46:47], s[12:13], v[20:21]
	v_add_f64 v[20:21], v[24:25], v[26:27]
	v_add_f64 v[16:17], v[16:17], -v[32:33]
	v_add_f64 v[24:25], v[26:27], -v[24:25]
	;; [unrolled: 1-line block ×3, first 2 shown]
	v_add_f64 v[26:27], v[30:31], v[28:29]
	ds_write_b128 v244, v[0:3]
	ds_write_b128 v244, v[20:23] offset:64
	ds_write_b128 v244, v[12:15] offset:128
	;; [unrolled: 1-line block ×6, first 2 shown]
	s_waitcnt lgkmcnt(0)
	s_barrier
	buffer_gl0_inv
	ds_read_b128 v[0:3], v242 offset:3136
	ds_read_b128 v[4:7], v242 offset:4704
	s_clause 0x3
	buffer_load_dword v10, off, s[36:39], 0 offset:248
	buffer_load_dword v11, off, s[36:39], 0 offset:252
	;; [unrolled: 1-line block ×4, first 2 shown]
	s_waitcnt vmcnt(0) lgkmcnt(1)
	v_mul_f64 v[8:9], v[12:13], v[2:3]
	v_fma_f64 v[28:29], v[10:11], v[0:1], v[8:9]
	v_mul_f64 v[0:1], v[12:13], v[0:1]
	v_fma_f64 v[30:31], v[10:11], v[2:3], -v[0:1]
	ds_read_b128 v[0:3], v242 offset:6272
	ds_read_b128 v[8:11], v242 offset:7840
	s_waitcnt lgkmcnt(1)
	v_mul_f64 v[12:13], v[94:95], v[2:3]
	v_fma_f64 v[32:33], v[92:93], v[0:1], v[12:13]
	v_mul_f64 v[0:1], v[94:95], v[0:1]
	v_fma_f64 v[34:35], v[92:93], v[2:3], -v[0:1]
	ds_read_b128 v[0:3], v242 offset:18816
	ds_read_b128 v[12:15], v242 offset:20384
	s_waitcnt lgkmcnt(1)
	;; [unrolled: 7-line block ×5, first 2 shown]
	v_mul_f64 v[48:49], v[122:123], v[2:3]
	v_fma_f64 v[48:49], v[120:121], v[0:1], v[48:49]
	v_mul_f64 v[0:1], v[122:123], v[0:1]
	v_fma_f64 v[50:51], v[120:121], v[2:3], -v[0:1]
	v_mul_f64 v[0:1], v[142:143], v[6:7]
	v_fma_f64 v[52:53], v[140:141], v[4:5], v[0:1]
	v_mul_f64 v[0:1], v[142:143], v[4:5]
	v_fma_f64 v[54:55], v[140:141], v[6:7], -v[0:1]
	v_mul_f64 v[0:1], v[150:151], v[14:15]
	v_fma_f64 v[60:61], v[148:149], v[12:13], v[0:1]
	v_mul_f64 v[0:1], v[150:151], v[12:13]
	v_add_f64 v[12:13], v[34:35], v[42:43]
	v_fma_f64 v[62:63], v[148:149], v[14:15], -v[0:1]
	v_mul_f64 v[0:1], v[134:135], v[10:11]
	v_fma_f64 v[64:65], v[132:133], v[8:9], v[0:1]
	v_mul_f64 v[0:1], v[134:135], v[8:9]
	v_add_f64 v[8:9], v[32:33], v[40:41]
	v_fma_f64 v[66:67], v[132:133], v[10:11], -v[0:1]
	v_mul_f64 v[0:1], v[146:147], v[18:19]
	v_fma_f64 v[68:69], v[144:145], v[16:17], v[0:1]
	v_mul_f64 v[0:1], v[146:147], v[16:17]
	v_add_f64 v[16:17], v[28:29], v[36:37]
	v_add_f64 v[28:29], v[28:29], -v[36:37]
	v_fma_f64 v[70:71], v[144:145], v[18:19], -v[0:1]
	v_mul_f64 v[0:1], v[138:139], v[22:23]
	v_add_f64 v[18:19], v[44:45], v[48:49]
	v_add_f64 v[36:37], v[8:9], -v[16:17]
	v_fma_f64 v[72:73], v[136:137], v[20:21], v[0:1]
	v_mul_f64 v[0:1], v[138:139], v[20:21]
	v_add_f64 v[20:21], v[30:31], v[38:39]
	v_add_f64 v[30:31], v[30:31], -v[38:39]
	v_add_f64 v[38:39], v[18:19], -v[8:9]
	v_fma_f64 v[74:75], v[136:137], v[22:23], -v[0:1]
	s_waitcnt lgkmcnt(0)
	v_mul_f64 v[0:1], v[126:127], v[26:27]
	v_add_f64 v[22:23], v[46:47], v[50:51]
	v_fma_f64 v[76:77], v[124:125], v[24:25], v[0:1]
	v_mul_f64 v[0:1], v[126:127], v[24:25]
	v_add_f64 v[24:25], v[32:33], -v[40:41]
	v_add_f64 v[32:33], v[34:35], -v[42:43]
	;; [unrolled: 1-line block ×5, first 2 shown]
	v_fma_f64 v[78:79], v[124:125], v[26:27], -v[0:1]
	v_add_f64 v[0:1], v[8:9], v[16:17]
	v_add_f64 v[26:27], v[48:49], -v[44:45]
	v_add_f64 v[44:45], v[34:35], v[32:33]
	v_add_f64 v[46:47], v[34:35], -v[32:33]
	v_add_f64 v[32:33], v[32:33], -v[30:31]
	;; [unrolled: 1-line block ×3, first 2 shown]
	v_add_f64 v[10:11], v[18:19], v[0:1]
	v_add_f64 v[0:1], v[12:13], v[20:21]
	v_add_f64 v[12:13], v[26:27], -v[24:25]
	v_add_f64 v[8:9], v[26:27], v[24:25]
	v_add_f64 v[24:25], v[24:25], -v[28:29]
	v_add_f64 v[18:19], v[20:21], -v[22:23]
	v_add_f64 v[44:45], v[44:45], v[30:31]
	v_add_f64 v[26:27], v[28:29], -v[26:27]
	v_mul_f64 v[46:47], v[46:47], s[20:21]
	v_add_f64 v[14:15], v[22:23], v[0:1]
	ds_read_b128 v[0:3], v242
	ds_read_b128 v[4:7], v242 offset:1568
	v_mul_f64 v[50:51], v[12:13], s[20:21]
	v_add_f64 v[48:49], v[8:9], v[28:29]
	v_add_f64 v[28:29], v[30:31], -v[34:35]
	v_mul_f64 v[20:21], v[24:25], s[14:15]
	v_mul_f64 v[22:23], v[32:33], s[14:15]
	;; [unrolled: 1-line block ×5, first 2 shown]
	s_waitcnt lgkmcnt(0)
	s_barrier
	buffer_gl0_inv
	v_add_f64 v[0:1], v[0:1], v[10:11]
	v_add_f64 v[2:3], v[2:3], v[14:15]
	v_fma_f64 v[18:19], v[28:29], s[28:29], v[22:23]
	v_fma_f64 v[22:23], v[40:41], s[26:27], -v[30:31]
	v_fma_f64 v[28:29], v[28:29], s[22:23], v[46:47]
	v_fma_f64 v[30:31], v[42:43], s[8:9], v[30:31]
	v_fma_f64 v[8:9], v[36:37], s[18:19], -v[8:9]
	v_fma_f64 v[12:13], v[40:41], s[18:19], -v[12:13]
	v_fma_f64 v[56:57], v[10:11], s[6:7], v[0:1]
	v_fma_f64 v[10:11], v[24:25], s[16:17], -v[50:51]
	v_mul_f64 v[24:25], v[16:17], s[24:25]
	v_fma_f64 v[58:59], v[14:15], s[6:7], v[2:3]
	v_fma_f64 v[16:17], v[26:27], s[28:29], v[20:21]
	;; [unrolled: 1-line block ×5, first 2 shown]
	v_add_f64 v[82:83], v[8:9], v[56:57]
	v_fma_f64 v[14:15], v[48:49], s[12:13], v[10:11]
	v_fma_f64 v[20:21], v[36:37], s[26:27], -v[24:25]
	v_fma_f64 v[10:11], v[32:33], s[16:17], -v[46:47]
	v_fma_f64 v[32:33], v[48:49], s[12:13], v[16:17]
	v_add_f64 v[22:23], v[22:23], v[58:59]
	v_fma_f64 v[24:25], v[38:39], s[8:9], v[24:25]
	v_add_f64 v[30:31], v[30:31], v[58:59]
	v_add_f64 v[84:85], v[12:13], v[58:59]
	;; [unrolled: 1-line block ×3, first 2 shown]
	v_fma_f64 v[80:81], v[44:45], s[12:13], v[10:11]
	v_add_f64 v[18:19], v[22:23], -v[32:33]
	v_add_f64 v[22:23], v[32:33], v[22:23]
	v_fma_f64 v[32:33], v[48:49], s[12:13], v[26:27]
	v_add_f64 v[10:11], v[14:15], v[84:85]
	v_add_f64 v[14:15], v[84:85], -v[14:15]
	v_add_f64 v[16:17], v[34:35], v[20:21]
	v_add_f64 v[20:21], v[20:21], -v[34:35]
	;; [unrolled: 2-line block ×6, first 2 shown]
	ds_write_b128 v254, v[0:3]
	ds_write_b128 v254, v[24:27] offset:448
	ds_write_b128 v254, v[16:19] offset:896
	;; [unrolled: 1-line block ×6, first 2 shown]
	v_add_f64 v[12:13], v[52:53], v[60:61]
	v_add_f64 v[8:9], v[64:65], v[68:69]
	;; [unrolled: 1-line block ×6, first 2 shown]
	v_add_f64 v[24:25], v[76:77], -v[72:73]
	v_add_f64 v[26:27], v[52:53], -v[60:61]
	;; [unrolled: 1-line block ×3, first 2 shown]
	v_add_f64 v[0:1], v[8:9], v[12:13]
	v_add_f64 v[32:33], v[8:9], -v[12:13]
	v_add_f64 v[34:35], v[14:15], -v[8:9]
	;; [unrolled: 1-line block ×5, first 2 shown]
	v_add_f64 v[10:11], v[14:15], v[0:1]
	v_add_f64 v[0:1], v[18:19], v[16:17]
	v_add_f64 v[14:15], v[16:17], -v[20:21]
	v_add_f64 v[22:23], v[20:21], v[0:1]
	v_add_f64 v[0:1], v[4:5], v[10:11]
	v_add_f64 v[4:5], v[64:65], -v[68:69]
	v_add_f64 v[20:21], v[26:27], -v[24:25]
	v_add_f64 v[2:3], v[6:7], v[22:23]
	v_add_f64 v[6:7], v[66:67], -v[70:71]
	v_add_f64 v[18:19], v[24:25], -v[4:5]
	v_add_f64 v[8:9], v[24:25], v[4:5]
	v_add_f64 v[40:41], v[4:5], -v[26:27]
	v_fma_f64 v[52:53], v[10:11], s[6:7], v[0:1]
	v_add_f64 v[24:25], v[30:31], -v[28:29]
	v_fma_f64 v[22:23], v[22:23], s[6:7], v[2:3]
	v_add_f64 v[4:5], v[28:29], v[6:7]
	v_add_f64 v[42:43], v[28:29], -v[6:7]
	v_mul_f64 v[50:51], v[18:19], s[20:21]
	v_add_f64 v[44:45], v[6:7], -v[30:31]
	v_add_f64 v[46:47], v[8:9], v[26:27]
	v_mul_f64 v[16:17], v[40:41], s[14:15]
	v_mul_f64 v[28:29], v[14:15], s[24:25]
	;; [unrolled: 1-line block ×4, first 2 shown]
	v_add_f64 v[48:49], v[4:5], v[30:31]
	v_mul_f64 v[42:43], v[42:43], s[20:21]
	v_mul_f64 v[4:5], v[34:35], s[8:9]
	v_fma_f64 v[8:9], v[40:41], s[16:17], -v[50:51]
	v_fma_f64 v[12:13], v[20:21], s[28:29], v[16:17]
	v_fma_f64 v[20:21], v[20:21], s[22:23], v[50:51]
	v_fma_f64 v[16:17], v[32:33], s[26:27], -v[26:27]
	v_fma_f64 v[26:27], v[34:35], s[8:9], v[26:27]
	v_fma_f64 v[6:7], v[36:37], s[18:19], -v[6:7]
	v_fma_f64 v[4:5], v[32:33], s[18:19], -v[4:5]
	v_fma_f64 v[10:11], v[46:47], s[12:13], v[8:9]
	v_fma_f64 v[8:9], v[44:45], s[16:17], -v[42:43]
	v_fma_f64 v[30:31], v[46:47], s[12:13], v[12:13]
	v_add_f64 v[16:17], v[16:17], v[52:53]
	v_add_f64 v[26:27], v[26:27], v[52:53]
	;; [unrolled: 1-line block ×4, first 2 shown]
	v_fma_f64 v[8:9], v[48:49], s[12:13], v[8:9]
	v_add_f64 v[6:7], v[10:11], v[54:55]
	v_add_f64 v[10:11], v[54:55], -v[10:11]
	v_add_f64 v[4:5], v[18:19], -v[8:9]
	v_add_f64 v[8:9], v[8:9], v[18:19]
	v_mul_f64 v[18:19], v[44:45], s[14:15]
	v_fma_f64 v[14:15], v[24:25], s[28:29], v[18:19]
	v_fma_f64 v[18:19], v[36:37], s[26:27], -v[28:29]
	v_fma_f64 v[24:25], v[24:25], s[22:23], v[42:43]
	v_fma_f64 v[28:29], v[38:39], s[8:9], v[28:29]
	;; [unrolled: 1-line block ×3, first 2 shown]
	v_add_f64 v[18:19], v[18:19], v[22:23]
	v_fma_f64 v[24:25], v[48:49], s[12:13], v[24:25]
	v_add_f64 v[28:29], v[28:29], v[22:23]
	v_add_f64 v[12:13], v[32:33], v[16:17]
	v_add_f64 v[14:15], v[18:19], -v[30:31]
	v_add_f64 v[18:19], v[30:31], v[18:19]
	v_fma_f64 v[30:31], v[46:47], s[12:13], v[20:21]
	v_add_f64 v[20:21], v[24:25], v[26:27]
	v_add_f64 v[16:17], v[16:17], -v[32:33]
	v_add_f64 v[24:25], v[26:27], -v[24:25]
	;; [unrolled: 1-line block ×3, first 2 shown]
	v_add_f64 v[26:27], v[30:31], v[28:29]
	ds_write_b128 v240, v[0:3]
	ds_write_b128 v240, v[20:23] offset:448
	ds_write_b128 v240, v[12:15] offset:896
	ds_write_b128 v240, v[4:7] offset:1344
	ds_write_b128 v240, v[8:11] offset:1792
	ds_write_b128 v240, v[16:19] offset:2240
	ds_write_b128 v240, v[24:27] offset:2688
	s_waitcnt lgkmcnt(0)
	s_barrier
	buffer_gl0_inv
	ds_read_b128 v[0:3], v242 offset:3136
	ds_read_b128 v[4:7], v242 offset:4704
	s_waitcnt lgkmcnt(1)
	v_mul_f64 v[8:9], v[162:163], v[2:3]
	v_fma_f64 v[28:29], v[160:161], v[0:1], v[8:9]
	v_mul_f64 v[0:1], v[162:163], v[0:1]
	v_fma_f64 v[30:31], v[160:161], v[2:3], -v[0:1]
	ds_read_b128 v[0:3], v242 offset:6272
	ds_read_b128 v[8:11], v242 offset:7840
	s_waitcnt lgkmcnt(1)
	v_mul_f64 v[12:13], v[170:171], v[2:3]
	v_fma_f64 v[32:33], v[168:169], v[0:1], v[12:13]
	v_mul_f64 v[0:1], v[170:171], v[0:1]
	v_fma_f64 v[34:35], v[168:169], v[2:3], -v[0:1]
	;; [unrolled: 7-line block ×6, first 2 shown]
	v_mul_f64 v[0:1], v[194:195], v[6:7]
	v_fma_f64 v[52:53], v[192:193], v[4:5], v[0:1]
	v_mul_f64 v[0:1], v[194:195], v[4:5]
	v_fma_f64 v[54:55], v[192:193], v[6:7], -v[0:1]
	v_mul_f64 v[0:1], v[202:203], v[14:15]
	v_fma_f64 v[60:61], v[200:201], v[12:13], v[0:1]
	v_mul_f64 v[0:1], v[202:203], v[12:13]
	v_add_f64 v[12:13], v[34:35], v[42:43]
	v_add_f64 v[80:81], v[52:53], v[60:61]
	v_fma_f64 v[62:63], v[200:201], v[14:15], -v[0:1]
	v_mul_f64 v[0:1], v[190:191], v[10:11]
	v_add_f64 v[88:89], v[54:55], v[62:63]
	v_fma_f64 v[64:65], v[188:189], v[8:9], v[0:1]
	v_mul_f64 v[0:1], v[190:191], v[8:9]
	v_add_f64 v[8:9], v[32:33], v[40:41]
	v_fma_f64 v[66:67], v[188:189], v[10:11], -v[0:1]
	v_mul_f64 v[0:1], v[198:199], v[18:19]
	v_fma_f64 v[68:69], v[196:197], v[16:17], v[0:1]
	v_mul_f64 v[0:1], v[198:199], v[16:17]
	v_add_f64 v[16:17], v[28:29], v[36:37]
	v_add_f64 v[28:29], v[28:29], -v[36:37]
	v_add_f64 v[82:83], v[64:65], v[68:69]
	v_fma_f64 v[70:71], v[196:197], v[18:19], -v[0:1]
	v_mul_f64 v[0:1], v[186:187], v[22:23]
	v_add_f64 v[18:19], v[44:45], v[48:49]
	v_add_f64 v[36:37], v[8:9], -v[16:17]
	v_add_f64 v[90:91], v[66:67], v[70:71]
	v_fma_f64 v[72:73], v[184:185], v[20:21], v[0:1]
	v_mul_f64 v[0:1], v[186:187], v[20:21]
	v_add_f64 v[20:21], v[30:31], v[38:39]
	v_add_f64 v[30:31], v[30:31], -v[38:39]
	v_add_f64 v[38:39], v[18:19], -v[8:9]
	v_fma_f64 v[74:75], v[184:185], v[22:23], -v[0:1]
	s_waitcnt lgkmcnt(0)
	v_mul_f64 v[0:1], v[178:179], v[26:27]
	v_add_f64 v[22:23], v[46:47], v[50:51]
	v_fma_f64 v[76:77], v[176:177], v[24:25], v[0:1]
	v_mul_f64 v[0:1], v[178:179], v[24:25]
	v_add_f64 v[24:25], v[82:83], v[80:81]
	v_add_f64 v[84:85], v[72:73], v[76:77]
	v_fma_f64 v[78:79], v[176:177], v[26:27], -v[0:1]
	v_add_f64 v[0:1], v[8:9], v[16:17]
	v_add_f64 v[26:27], v[48:49], -v[44:45]
	v_add_f64 v[16:17], v[16:17], -v[18:19]
	v_add_f64 v[86:87], v[84:85], v[24:25]
	v_add_f64 v[92:93], v[74:75], v[78:79]
	;; [unrolled: 1-line block ×5, first 2 shown]
	v_add_f64 v[18:19], v[20:21], -v[22:23]
	v_add_f64 v[94:95], v[92:93], v[24:25]
	v_add_f64 v[24:25], v[32:33], -v[40:41]
	v_add_f64 v[32:33], v[34:35], -v[42:43]
	;; [unrolled: 1-line block ×5, first 2 shown]
	v_add_f64 v[14:15], v[22:23], v[0:1]
	ds_read_b128 v[0:3], v242
	ds_read_b128 v[4:7], v242 offset:1568
	v_add_f64 v[12:13], v[26:27], -v[24:25]
	v_add_f64 v[8:9], v[26:27], v[24:25]
	v_add_f64 v[24:25], v[24:25], -v[28:29]
	s_waitcnt lgkmcnt(1)
	v_add_f64 v[0:1], v[0:1], v[10:11]
	v_add_f64 v[44:45], v[34:35], v[32:33]
	v_add_f64 v[46:47], v[34:35], -v[32:33]
	v_add_f64 v[32:33], v[32:33], -v[30:31]
	v_add_f64 v[2:3], v[2:3], v[14:15]
	v_add_f64 v[26:27], v[28:29], -v[26:27]
	s_waitcnt lgkmcnt(0)
	v_add_f64 v[4:5], v[4:5], v[86:87]
	v_add_f64 v[6:7], v[6:7], v[94:95]
	v_mul_f64 v[50:51], v[12:13], s[20:21]
	v_add_f64 v[48:49], v[8:9], v[28:29]
	v_add_f64 v[28:29], v[30:31], -v[34:35]
	v_fma_f64 v[56:57], v[10:11], s[6:7], v[0:1]
	v_add_f64 v[44:45], v[44:45], v[30:31]
	v_mul_f64 v[20:21], v[24:25], s[14:15]
	v_mul_f64 v[22:23], v[32:33], s[14:15]
	;; [unrolled: 1-line block ×4, first 2 shown]
	v_fma_f64 v[58:59], v[14:15], s[6:7], v[2:3]
	v_mul_f64 v[8:9], v[38:39], s[8:9]
	v_mul_f64 v[12:13], v[42:43], s[8:9]
	v_fma_f64 v[10:11], v[24:25], s[16:17], -v[50:51]
	v_mul_f64 v[24:25], v[16:17], s[24:25]
	v_fma_f64 v[16:17], v[26:27], s[28:29], v[20:21]
	v_fma_f64 v[18:19], v[28:29], s[28:29], v[22:23]
	v_fma_f64 v[22:23], v[40:41], s[26:27], -v[30:31]
	v_fma_f64 v[26:27], v[26:27], s[22:23], v[50:51]
	v_fma_f64 v[28:29], v[28:29], s[22:23], v[46:47]
	;; [unrolled: 1-line block ×3, first 2 shown]
	v_fma_f64 v[8:9], v[36:37], s[18:19], -v[8:9]
	v_fma_f64 v[12:13], v[40:41], s[18:19], -v[12:13]
	v_add_f64 v[42:43], v[84:85], -v[82:83]
	v_add_f64 v[40:41], v[82:83], -v[80:81]
	v_fma_f64 v[14:15], v[48:49], s[12:13], v[10:11]
	v_fma_f64 v[20:21], v[36:37], s[26:27], -v[24:25]
	v_fma_f64 v[10:11], v[32:33], s[16:17], -v[46:47]
	v_fma_f64 v[24:25], v[38:39], s[8:9], v[24:25]
	v_add_f64 v[36:37], v[78:79], -v[74:75]
	v_fma_f64 v[32:33], v[48:49], s[12:13], v[16:17]
	v_fma_f64 v[34:35], v[44:45], s[12:13], v[18:19]
	v_add_f64 v[22:23], v[22:23], v[58:59]
	v_add_f64 v[38:39], v[54:55], -v[62:63]
	v_fma_f64 v[28:29], v[44:45], s[12:13], v[28:29]
	v_add_f64 v[30:31], v[30:31], v[58:59]
	v_add_f64 v[98:99], v[8:9], v[56:57]
	;; [unrolled: 1-line block ×3, first 2 shown]
	v_add_f64 v[46:47], v[92:93], -v[90:91]
	v_fma_f64 v[78:79], v[94:95], s[6:7], v[6:7]
	v_add_f64 v[20:21], v[20:21], v[56:57]
	v_fma_f64 v[96:97], v[44:45], s[12:13], v[10:11]
	v_add_f64 v[44:45], v[90:91], -v[88:89]
	v_add_f64 v[18:19], v[22:23], -v[32:33]
	v_add_f64 v[22:23], v[32:33], v[22:23]
	v_fma_f64 v[32:33], v[48:49], s[12:13], v[26:27]
	v_add_f64 v[10:11], v[14:15], v[100:101]
	v_mul_f64 v[62:63], v[46:47], s[8:9]
	v_add_f64 v[14:15], v[100:101], -v[14:15]
	v_add_f64 v[16:17], v[34:35], v[20:21]
	v_add_f64 v[20:21], v[20:21], -v[34:35]
	v_add_f64 v[34:35], v[24:25], v[56:57]
	;; [unrolled: 2-line block ×4, first 2 shown]
	v_add_f64 v[30:31], v[76:77], -v[72:73]
	v_add_f64 v[32:33], v[52:53], -v[60:61]
	v_mul_f64 v[60:61], v[42:43], s[8:9]
	v_fma_f64 v[62:63], v[44:45], s[18:19], -v[62:63]
	v_fma_f64 v[76:77], v[86:87], s[6:7], v[4:5]
	s_mul_i32 s6, s0, 0x2ae0
	s_mul_hi_u32 s7, s0, 0xffffdb40
	v_add_f64 v[24:25], v[28:29], v[34:35]
	v_add_f64 v[56:57], v[34:35], -v[28:29]
	v_add_f64 v[28:29], v[64:65], -v[68:69]
	;; [unrolled: 1-line block ×3, first 2 shown]
	v_fma_f64 v[60:61], v[40:41], s[18:19], -v[60:61]
	v_add_f64 v[70:71], v[62:63], v[78:79]
	v_add_f64 v[50:51], v[30:31], -v[28:29]
	v_add_f64 v[48:49], v[30:31], v[28:29]
	v_add_f64 v[28:29], v[28:29], -v[32:33]
	v_add_f64 v[54:55], v[36:37], -v[34:35]
	v_add_f64 v[52:53], v[36:37], v[34:35]
	v_add_f64 v[34:35], v[34:35], -v[38:39]
	v_add_f64 v[30:31], v[32:33], -v[30:31]
	v_add_f64 v[68:69], v[60:61], v[76:77]
	v_mul_f64 v[50:51], v[50:51], s[20:21]
	v_add_f64 v[48:49], v[48:49], v[32:33]
	v_add_f64 v[32:33], v[38:39], -v[36:37]
	v_mul_f64 v[54:55], v[54:55], s[20:21]
	v_add_f64 v[52:53], v[52:53], v[38:39]
	v_fma_f64 v[64:65], v[28:29], s[16:17], -v[50:51]
	v_mul_f64 v[28:29], v[28:29], s[14:15]
	v_fma_f64 v[66:67], v[48:49], s[12:13], v[64:65]
	v_fma_f64 v[64:65], v[34:35], s[16:17], -v[54:55]
	v_mul_f64 v[34:35], v[34:35], s[14:15]
	v_fma_f64 v[28:29], v[30:31], s[28:29], v[28:29]
	v_add_f64 v[62:63], v[66:67], v[70:71]
	v_fma_f64 v[64:65], v[52:53], s[12:13], v[64:65]
	v_add_f64 v[66:67], v[70:71], -v[66:67]
	v_add_f64 v[70:71], v[88:89], -v[92:93]
	v_fma_f64 v[34:35], v[32:33], s[28:29], v[34:35]
	v_fma_f64 v[28:29], v[48:49], s[12:13], v[28:29]
	v_add_f64 v[60:61], v[68:69], -v[64:65]
	v_add_f64 v[64:65], v[64:65], v[68:69]
	v_add_f64 v[68:69], v[80:81], -v[84:85]
	v_mul_f64 v[38:39], v[70:71], s[24:25]
	v_fma_f64 v[34:35], v[52:53], s[12:13], v[34:35]
	v_mul_f64 v[36:37], v[68:69], s[24:25]
	v_fma_f64 v[44:45], v[44:45], s[26:27], -v[38:39]
	v_fma_f64 v[40:41], v[40:41], s[26:27], -v[36:37]
	v_add_f64 v[44:45], v[44:45], v[78:79]
	v_add_f64 v[40:41], v[40:41], v[76:77]
	v_add_f64 v[70:71], v[44:45], -v[28:29]
	v_add_f64 v[74:75], v[28:29], v[44:45]
	v_fma_f64 v[28:29], v[30:31], s[22:23], v[50:51]
	v_fma_f64 v[30:31], v[32:33], s[22:23], v[54:55]
	;; [unrolled: 1-line block ×3, first 2 shown]
	v_add_f64 v[68:69], v[34:35], v[40:41]
	v_add_f64 v[72:73], v[40:41], -v[34:35]
	v_fma_f64 v[34:35], v[46:47], s[8:9], v[38:39]
	v_fma_f64 v[28:29], v[48:49], s[12:13], v[28:29]
	;; [unrolled: 1-line block ×3, first 2 shown]
	v_add_f64 v[32:33], v[32:33], v[76:77]
	s_mul_i32 s8, s0, 0xffffdb40
	v_add_f64 v[34:35], v[34:35], v[78:79]
	v_add_f64 v[76:77], v[30:31], v[32:33]
	v_add_f64 v[80:81], v[32:33], -v[30:31]
	v_add_f64 v[78:79], v[34:35], -v[28:29]
	v_add_f64 v[82:83], v[28:29], v[34:35]
	ds_write_b128 v242, v[0:3]
	ds_write_b128 v242, v[4:7] offset:1568
	ds_write_b128 v242, v[24:27] offset:3136
	;; [unrolled: 1-line block ×13, first 2 shown]
	s_waitcnt lgkmcnt(0)
	s_barrier
	buffer_gl0_inv
	ds_read_b128 v[0:3], v242
	ds_read_b128 v[4:7], v242 offset:1568
	s_clause 0x3
	buffer_load_dword v18, off, s[36:39], 0 offset:216
	buffer_load_dword v19, off, s[36:39], 0 offset:220
	;; [unrolled: 1-line block ×4, first 2 shown]
	ds_read_b128 v[8:11], v242 offset:10976
	v_mad_u64_u32 v[58:59], null, s0, v241, 0
	s_waitcnt vmcnt(0) lgkmcnt(2)
	v_mul_f64 v[12:13], v[20:21], v[2:3]
	v_mul_f64 v[14:15], v[20:21], v[0:1]
	v_fma_f64 v[16:17], v[18:19], v[0:1], v[12:13]
	v_fma_f64 v[18:19], v[18:19], v[2:3], -v[14:15]
	ds_read_b128 v[0:3], v242 offset:9408
	s_clause 0x7
	buffer_load_dword v22, off, s[36:39], 0 offset:88
	buffer_load_dword v23, off, s[36:39], 0 offset:92
	buffer_load_dword v24, off, s[36:39], 0 offset:96
	buffer_load_dword v25, off, s[36:39], 0 offset:100
	buffer_load_dword v26, off, s[36:39], 0 offset:104
	buffer_load_dword v27, off, s[36:39], 0 offset:108
	buffer_load_dword v28, off, s[36:39], 0 offset:112
	buffer_load_dword v29, off, s[36:39], 0 offset:116
	s_waitcnt vmcnt(4) lgkmcnt(1)
	v_mul_f64 v[12:13], v[24:25], v[10:11]
	v_mul_f64 v[14:15], v[24:25], v[8:9]
	v_fma_f64 v[20:21], v[22:23], v[8:9], v[12:13]
	v_fma_f64 v[22:23], v[22:23], v[10:11], -v[14:15]
	s_waitcnt vmcnt(0)
	v_mul_f64 v[12:13], v[28:29], v[6:7]
	v_mul_f64 v[14:15], v[28:29], v[4:5]
	ds_read_b128 v[8:11], v242 offset:12544
	v_fma_f64 v[24:25], v[26:27], v[4:5], v[12:13]
	v_fma_f64 v[26:27], v[26:27], v[6:7], -v[14:15]
	ds_read_b128 v[4:7], v242 offset:14112
	s_clause 0x3
	buffer_load_dword v30, off, s[36:39], 0 offset:72
	buffer_load_dword v31, off, s[36:39], 0 offset:76
	buffer_load_dword v32, off, s[36:39], 0 offset:80
	buffer_load_dword v33, off, s[36:39], 0 offset:84
	s_waitcnt vmcnt(0) lgkmcnt(1)
	v_mul_f64 v[12:13], v[32:33], v[10:11]
	v_mul_f64 v[14:15], v[32:33], v[8:9]
	v_fma_f64 v[28:29], v[30:31], v[8:9], v[12:13]
	v_fma_f64 v[30:31], v[30:31], v[10:11], -v[14:15]
	ds_read_b128 v[8:11], v242 offset:3136
	ds_read_b128 v[12:15], v242 offset:4704
	s_clause 0xb
	buffer_load_dword v34, off, s[36:39], 0 offset:40
	buffer_load_dword v35, off, s[36:39], 0 offset:44
	;; [unrolled: 1-line block ×12, first 2 shown]
	s_waitcnt vmcnt(8) lgkmcnt(1)
	v_mul_f64 v[32:33], v[36:37], v[10:11]
	v_fma_f64 v[32:33], v[34:35], v[8:9], v[32:33]
	v_mul_f64 v[8:9], v[36:37], v[8:9]
	v_fma_f64 v[34:35], v[34:35], v[10:11], -v[8:9]
	s_waitcnt vmcnt(4)
	v_mul_f64 v[8:9], v[40:41], v[6:7]
	v_mul_f64 v[10:11], v[40:41], v[4:5]
	v_fma_f64 v[36:37], v[38:39], v[4:5], v[8:9]
	v_fma_f64 v[38:39], v[38:39], v[6:7], -v[10:11]
	s_waitcnt vmcnt(0) lgkmcnt(0)
	v_mul_f64 v[8:9], v[44:45], v[14:15]
	v_mul_f64 v[10:11], v[44:45], v[12:13]
	ds_read_b128 v[4:7], v242 offset:15680
	v_fma_f64 v[40:41], v[42:43], v[12:13], v[8:9]
	v_fma_f64 v[42:43], v[42:43], v[14:15], -v[10:11]
	ds_read_b128 v[8:11], v242 offset:17248
	s_clause 0x3
	buffer_load_dword v46, off, s[36:39], 0 offset:120
	buffer_load_dword v47, off, s[36:39], 0 offset:124
	;; [unrolled: 1-line block ×4, first 2 shown]
	s_waitcnt vmcnt(0) lgkmcnt(1)
	v_mul_f64 v[12:13], v[48:49], v[6:7]
	v_mul_f64 v[14:15], v[48:49], v[4:5]
	v_fma_f64 v[44:45], v[46:47], v[4:5], v[12:13]
	v_fma_f64 v[46:47], v[46:47], v[6:7], -v[14:15]
	ds_read_b128 v[4:7], v242 offset:6272
	ds_read_b128 v[12:15], v242 offset:7840
	s_clause 0x7
	buffer_load_dword v50, off, s[36:39], 0 offset:152
	buffer_load_dword v51, off, s[36:39], 0 offset:156
	;; [unrolled: 1-line block ×8, first 2 shown]
	s_waitcnt vmcnt(4) lgkmcnt(1)
	v_mul_f64 v[48:49], v[52:53], v[6:7]
	v_fma_f64 v[48:49], v[50:51], v[4:5], v[48:49]
	v_mul_f64 v[4:5], v[52:53], v[4:5]
	v_fma_f64 v[50:51], v[50:51], v[6:7], -v[4:5]
	s_waitcnt vmcnt(0)
	v_mul_f64 v[4:5], v[56:57], v[10:11]
	v_mul_f64 v[6:7], v[56:57], v[8:9]
	v_fma_f64 v[52:53], v[54:55], v[8:9], v[4:5]
	v_fma_f64 v[54:55], v[54:55], v[10:11], -v[6:7]
	s_clause 0x3
	buffer_load_dword v8, off, s[36:39], 0 offset:184
	buffer_load_dword v9, off, s[36:39], 0 offset:188
	;; [unrolled: 1-line block ×4, first 2 shown]
	s_waitcnt vmcnt(0) lgkmcnt(0)
	v_mul_f64 v[4:5], v[10:11], v[14:15]
	v_mul_f64 v[6:7], v[10:11], v[12:13]
	s_clause 0x1
	buffer_load_dword v10, off, s[36:39], 0
	buffer_load_dword v11, off, s[36:39], 0 offset:4
	v_fma_f64 v[60:61], v[8:9], v[12:13], v[4:5]
	v_fma_f64 v[62:63], v[8:9], v[14:15], -v[6:7]
	v_mov_b32_e32 v9, v59
	ds_read_b128 v[4:7], v242 offset:18816
	s_waitcnt vmcnt(1)
	v_mad_u64_u32 v[56:57], null, s2, v10, 0
	v_mov_b32_e32 v8, v57
	s_waitcnt vmcnt(0)
	v_mad_u64_u32 v[10:11], null, s3, v10, v[8:9]
	s_load_dwordx2 s[2:3], s[4:5], 0x38
	s_mul_i32 s4, s1, 0x2ae0
	s_mul_hi_u32 s5, s0, 0x2ae0
	s_sub_i32 s0, s7, s0
	s_add_i32 s5, s5, s4
	v_mad_u64_u32 v[8:9], null, s1, v241, v[9:10]
	v_mov_b32_e32 v57, v10
	s_mulk_i32 s1, 0xdb40
	v_lshlrev_b64 v[56:57], 4, v[56:57]
	v_mov_b32_e32 v59, v8
	ds_read_b128 v[8:11], v242 offset:20384
	s_clause 0x3
	buffer_load_dword v64, off, s[36:39], 0 offset:200
	buffer_load_dword v65, off, s[36:39], 0 offset:204
	buffer_load_dword v66, off, s[36:39], 0 offset:208
	buffer_load_dword v67, off, s[36:39], 0 offset:212
	s_waitcnt vmcnt(0) lgkmcnt(0)
	v_mul_f64 v[12:13], v[66:67], v[6:7]
	v_mul_f64 v[14:15], v[66:67], v[4:5]
	v_mov_b32_e32 v67, v65
	v_mov_b32_e32 v66, v64
	v_fma_f64 v[64:65], v[66:67], v[4:5], v[12:13]
	v_fma_f64 v[66:67], v[66:67], v[6:7], -v[14:15]
	s_clause 0x7
	buffer_load_dword v12, off, s[36:39], 0 offset:24
	buffer_load_dword v13, off, s[36:39], 0 offset:28
	buffer_load_dword v14, off, s[36:39], 0 offset:32
	buffer_load_dword v15, off, s[36:39], 0 offset:36
	buffer_load_dword v68, off, s[36:39], 0 offset:8
	buffer_load_dword v69, off, s[36:39], 0 offset:12
	buffer_load_dword v70, off, s[36:39], 0 offset:16
	buffer_load_dword v71, off, s[36:39], 0 offset:20
	s_waitcnt vmcnt(4)
	v_mul_f64 v[4:5], v[14:15], v[2:3]
	v_mul_f64 v[6:7], v[14:15], v[0:1]
	v_mov_b32_e32 v73, v13
	v_mov_b32_e32 v72, v12
	v_lshlrev_b64 v[12:13], 4, v[58:59]
	v_add_co_u32 v14, vcc_lo, s2, v56
	v_add_co_ci_u32_e32 v15, vcc_lo, s3, v57, vcc_lo
	s_waitcnt vmcnt(0)
	v_mul_f64 v[58:59], v[70:71], v[8:9]
	v_add_co_u32 v12, vcc_lo, v14, v12
	v_add_co_ci_u32_e32 v13, vcc_lo, v15, v13, vcc_lo
	v_mul_f64 v[14:15], v[70:71], v[10:11]
	v_add_co_u32 v56, vcc_lo, v12, s6
	v_add_co_ci_u32_e32 v57, vcc_lo, s5, v13, vcc_lo
	v_mov_b32_e32 v83, v69
	s_add_i32 s2, s0, s1
	v_mov_b32_e32 v82, v68
	v_fma_f64 v[68:69], v[72:73], v[0:1], v[4:5]
	v_fma_f64 v[70:71], v[72:73], v[2:3], -v[6:7]
	v_add_co_u32 v72, vcc_lo, v56, s8
	v_add_co_ci_u32_e32 v73, vcc_lo, s2, v57, vcc_lo
	s_mov_b32 s0, 0x515a4f1d
	v_add_co_u32 v74, vcc_lo, v72, s6
	v_add_co_ci_u32_e32 v75, vcc_lo, s5, v73, vcc_lo
	s_mov_b32 s1, 0x3f47e225
	v_add_co_u32 v76, vcc_lo, v74, s8
	v_mul_f64 v[0:1], v[16:17], s[0:1]
	v_mul_f64 v[2:3], v[18:19], s[0:1]
	v_add_co_ci_u32_e32 v77, vcc_lo, s2, v75, vcc_lo
	v_add_co_u32 v78, vcc_lo, v76, s6
	v_fma_f64 v[80:81], v[82:83], v[8:9], v[14:15]
	v_add_co_ci_u32_e32 v79, vcc_lo, s5, v77, vcc_lo
	v_fma_f64 v[58:59], v[82:83], v[10:11], -v[58:59]
	v_add_co_u32 v82, vcc_lo, v78, s8
	v_add_co_ci_u32_e32 v83, vcc_lo, s2, v79, vcc_lo
	v_mul_f64 v[4:5], v[24:25], s[0:1]
	v_add_co_u32 v84, vcc_lo, v82, s6
	v_add_co_ci_u32_e32 v85, vcc_lo, s5, v83, vcc_lo
	v_mul_f64 v[6:7], v[26:27], s[0:1]
	v_add_co_u32 v86, vcc_lo, v84, s8
	v_add_co_ci_u32_e32 v87, vcc_lo, s2, v85, vcc_lo
	global_store_dwordx4 v[12:13], v[0:3], off
	v_mul_f64 v[0:1], v[20:21], s[0:1]
	v_mul_f64 v[2:3], v[22:23], s[0:1]
	v_add_co_u32 v88, vcc_lo, v86, s6
	v_mul_f64 v[8:9], v[28:29], s[0:1]
	v_mul_f64 v[10:11], v[30:31], s[0:1]
	v_add_co_ci_u32_e32 v89, vcc_lo, s5, v87, vcc_lo
	v_mul_f64 v[12:13], v[32:33], s[0:1]
	v_mul_f64 v[14:15], v[34:35], s[0:1]
	;; [unrolled: 1-line block ×6, first 2 shown]
	v_add_co_u32 v90, vcc_lo, v88, s8
	v_mul_f64 v[24:25], v[44:45], s[0:1]
	v_mul_f64 v[26:27], v[46:47], s[0:1]
	;; [unrolled: 1-line block ×4, first 2 shown]
	v_add_co_ci_u32_e32 v91, vcc_lo, s2, v89, vcc_lo
	v_mul_f64 v[32:33], v[52:53], s[0:1]
	v_mul_f64 v[34:35], v[54:55], s[0:1]
	;; [unrolled: 1-line block ×8, first 2 shown]
	v_add_co_u32 v52, vcc_lo, v90, s6
	v_mul_f64 v[48:49], v[80:81], s[0:1]
	v_mul_f64 v[50:51], v[58:59], s[0:1]
	v_add_co_ci_u32_e32 v53, vcc_lo, s5, v91, vcc_lo
	v_add_co_u32 v54, vcc_lo, v52, s8
	global_store_dwordx4 v[56:57], v[0:3], off
	v_add_co_ci_u32_e32 v55, vcc_lo, s2, v53, vcc_lo
	v_add_co_u32 v0, vcc_lo, v54, s6
	v_add_co_ci_u32_e32 v1, vcc_lo, s5, v55, vcc_lo
	global_store_dwordx4 v[72:73], v[4:7], off
	global_store_dwordx4 v[74:75], v[8:11], off
	;; [unrolled: 1-line block ×12, first 2 shown]
.LBB0_2:
	s_endpgm
	.section	.rodata,"a",@progbits
	.p2align	6, 0x0
	.amdhsa_kernel bluestein_single_fwd_len1372_dim1_dp_op_CI_CI
		.amdhsa_group_segment_fixed_size 43904
		.amdhsa_private_segment_fixed_size 308
		.amdhsa_kernarg_size 104
		.amdhsa_user_sgpr_count 6
		.amdhsa_user_sgpr_private_segment_buffer 1
		.amdhsa_user_sgpr_dispatch_ptr 0
		.amdhsa_user_sgpr_queue_ptr 0
		.amdhsa_user_sgpr_kernarg_segment_ptr 1
		.amdhsa_user_sgpr_dispatch_id 0
		.amdhsa_user_sgpr_flat_scratch_init 0
		.amdhsa_user_sgpr_private_segment_size 0
		.amdhsa_wavefront_size32 1
		.amdhsa_uses_dynamic_stack 0
		.amdhsa_system_sgpr_private_segment_wavefront_offset 1
		.amdhsa_system_sgpr_workgroup_id_x 1
		.amdhsa_system_sgpr_workgroup_id_y 0
		.amdhsa_system_sgpr_workgroup_id_z 0
		.amdhsa_system_sgpr_workgroup_info 0
		.amdhsa_system_vgpr_workitem_id 0
		.amdhsa_next_free_vgpr 256
		.amdhsa_next_free_sgpr 40
		.amdhsa_reserve_vcc 1
		.amdhsa_reserve_flat_scratch 0
		.amdhsa_float_round_mode_32 0
		.amdhsa_float_round_mode_16_64 0
		.amdhsa_float_denorm_mode_32 3
		.amdhsa_float_denorm_mode_16_64 3
		.amdhsa_dx10_clamp 1
		.amdhsa_ieee_mode 1
		.amdhsa_fp16_overflow 0
		.amdhsa_workgroup_processor_mode 1
		.amdhsa_memory_ordered 1
		.amdhsa_forward_progress 0
		.amdhsa_shared_vgpr_count 0
		.amdhsa_exception_fp_ieee_invalid_op 0
		.amdhsa_exception_fp_denorm_src 0
		.amdhsa_exception_fp_ieee_div_zero 0
		.amdhsa_exception_fp_ieee_overflow 0
		.amdhsa_exception_fp_ieee_underflow 0
		.amdhsa_exception_fp_ieee_inexact 0
		.amdhsa_exception_int_div_zero 0
	.end_amdhsa_kernel
	.text
.Lfunc_end0:
	.size	bluestein_single_fwd_len1372_dim1_dp_op_CI_CI, .Lfunc_end0-bluestein_single_fwd_len1372_dim1_dp_op_CI_CI
                                        ; -- End function
	.section	.AMDGPU.csdata,"",@progbits
; Kernel info:
; codeLenInByte = 20576
; NumSgprs: 42
; NumVgprs: 256
; ScratchSize: 308
; MemoryBound: 0
; FloatMode: 240
; IeeeMode: 1
; LDSByteSize: 43904 bytes/workgroup (compile time only)
; SGPRBlocks: 5
; VGPRBlocks: 31
; NumSGPRsForWavesPerEU: 42
; NumVGPRsForWavesPerEU: 256
; Occupancy: 4
; WaveLimiterHint : 1
; COMPUTE_PGM_RSRC2:SCRATCH_EN: 1
; COMPUTE_PGM_RSRC2:USER_SGPR: 6
; COMPUTE_PGM_RSRC2:TRAP_HANDLER: 0
; COMPUTE_PGM_RSRC2:TGID_X_EN: 1
; COMPUTE_PGM_RSRC2:TGID_Y_EN: 0
; COMPUTE_PGM_RSRC2:TGID_Z_EN: 0
; COMPUTE_PGM_RSRC2:TIDIG_COMP_CNT: 0
	.text
	.p2alignl 6, 3214868480
	.fill 48, 4, 3214868480
	.type	__hip_cuid_e6b3f570eb6fc335,@object ; @__hip_cuid_e6b3f570eb6fc335
	.section	.bss,"aw",@nobits
	.globl	__hip_cuid_e6b3f570eb6fc335
__hip_cuid_e6b3f570eb6fc335:
	.byte	0                               ; 0x0
	.size	__hip_cuid_e6b3f570eb6fc335, 1

	.ident	"AMD clang version 19.0.0git (https://github.com/RadeonOpenCompute/llvm-project roc-6.4.0 25133 c7fe45cf4b819c5991fe208aaa96edf142730f1d)"
	.section	".note.GNU-stack","",@progbits
	.addrsig
	.addrsig_sym __hip_cuid_e6b3f570eb6fc335
	.amdgpu_metadata
---
amdhsa.kernels:
  - .args:
      - .actual_access:  read_only
        .address_space:  global
        .offset:         0
        .size:           8
        .value_kind:     global_buffer
      - .actual_access:  read_only
        .address_space:  global
        .offset:         8
        .size:           8
        .value_kind:     global_buffer
      - .actual_access:  read_only
        .address_space:  global
        .offset:         16
        .size:           8
        .value_kind:     global_buffer
      - .actual_access:  read_only
        .address_space:  global
        .offset:         24
        .size:           8
        .value_kind:     global_buffer
      - .actual_access:  read_only
        .address_space:  global
        .offset:         32
        .size:           8
        .value_kind:     global_buffer
      - .offset:         40
        .size:           8
        .value_kind:     by_value
      - .address_space:  global
        .offset:         48
        .size:           8
        .value_kind:     global_buffer
      - .address_space:  global
        .offset:         56
        .size:           8
        .value_kind:     global_buffer
      - .address_space:  global
        .offset:         64
        .size:           8
        .value_kind:     global_buffer
      - .address_space:  global
        .offset:         72
        .size:           8
        .value_kind:     global_buffer
      - .offset:         80
        .size:           4
        .value_kind:     by_value
      - .address_space:  global
        .offset:         88
        .size:           8
        .value_kind:     global_buffer
      - .address_space:  global
        .offset:         96
        .size:           8
        .value_kind:     global_buffer
    .group_segment_fixed_size: 43904
    .kernarg_segment_align: 8
    .kernarg_segment_size: 104
    .language:       OpenCL C
    .language_version:
      - 2
      - 0
    .max_flat_workgroup_size: 196
    .name:           bluestein_single_fwd_len1372_dim1_dp_op_CI_CI
    .private_segment_fixed_size: 308
    .sgpr_count:     42
    .sgpr_spill_count: 0
    .symbol:         bluestein_single_fwd_len1372_dim1_dp_op_CI_CI.kd
    .uniform_work_group_size: 1
    .uses_dynamic_stack: false
    .vgpr_count:     256
    .vgpr_spill_count: 76
    .wavefront_size: 32
    .workgroup_processor_mode: 1
amdhsa.target:   amdgcn-amd-amdhsa--gfx1030
amdhsa.version:
  - 1
  - 2
...

	.end_amdgpu_metadata
